;; amdgpu-corpus repo=ROCm/rocFFT kind=compiled arch=gfx950 opt=O3
	.text
	.amdgcn_target "amdgcn-amd-amdhsa--gfx950"
	.amdhsa_code_object_version 6
	.protected	fft_rtc_fwd_len3600_factors_10_10_6_6_wgs_120_tpt_120_halfLds_sp_ip_CI_unitstride_sbrr_C2R_dirReg ; -- Begin function fft_rtc_fwd_len3600_factors_10_10_6_6_wgs_120_tpt_120_halfLds_sp_ip_CI_unitstride_sbrr_C2R_dirReg
	.globl	fft_rtc_fwd_len3600_factors_10_10_6_6_wgs_120_tpt_120_halfLds_sp_ip_CI_unitstride_sbrr_C2R_dirReg
	.p2align	8
	.type	fft_rtc_fwd_len3600_factors_10_10_6_6_wgs_120_tpt_120_halfLds_sp_ip_CI_unitstride_sbrr_C2R_dirReg,@function
fft_rtc_fwd_len3600_factors_10_10_6_6_wgs_120_tpt_120_halfLds_sp_ip_CI_unitstride_sbrr_C2R_dirReg: ; @fft_rtc_fwd_len3600_factors_10_10_6_6_wgs_120_tpt_120_halfLds_sp_ip_CI_unitstride_sbrr_C2R_dirReg
; %bb.0:
	s_load_dwordx2 s[8:9], s[0:1], 0x50
	s_load_dwordx4 s[4:7], s[0:1], 0x0
	s_load_dwordx2 s[10:11], s[0:1], 0x18
	v_mul_u32_u24_e32 v1, 0x223, v0
	v_add_u32_sdwa v6, s2, v1 dst_sel:DWORD dst_unused:UNUSED_PAD src0_sel:DWORD src1_sel:WORD_1
	v_mov_b32_e32 v4, 0
	s_waitcnt lgkmcnt(0)
	v_cmp_lt_u64_e64 s[2:3], s[6:7], 2
	v_mov_b32_e32 v7, v4
	s_and_b64 vcc, exec, s[2:3]
	v_mov_b64_e32 v[2:3], 0
	s_cbranch_vccnz .LBB0_8
; %bb.1:
	s_load_dwordx2 s[2:3], s[0:1], 0x10
	s_add_u32 s12, s10, 8
	s_addc_u32 s13, s11, 0
	s_mov_b64 s[14:15], 1
	v_mov_b64_e32 v[2:3], 0
	s_waitcnt lgkmcnt(0)
	s_add_u32 s16, s2, 8
	s_addc_u32 s17, s3, 0
.LBB0_2:                                ; =>This Inner Loop Header: Depth=1
	s_load_dwordx2 s[18:19], s[16:17], 0x0
                                        ; implicit-def: $vgpr8_vgpr9
	s_waitcnt lgkmcnt(0)
	v_or_b32_e32 v5, s19, v7
	v_cmp_ne_u64_e32 vcc, 0, v[4:5]
	s_and_saveexec_b64 s[2:3], vcc
	s_xor_b64 s[20:21], exec, s[2:3]
	s_cbranch_execz .LBB0_4
; %bb.3:                                ;   in Loop: Header=BB0_2 Depth=1
	v_cvt_f32_u32_e32 v1, s18
	v_cvt_f32_u32_e32 v5, s19
	s_sub_u32 s2, 0, s18
	s_subb_u32 s3, 0, s19
	v_fmac_f32_e32 v1, 0x4f800000, v5
	v_rcp_f32_e32 v1, v1
	s_nop 0
	v_mul_f32_e32 v1, 0x5f7ffffc, v1
	v_mul_f32_e32 v5, 0x2f800000, v1
	v_trunc_f32_e32 v5, v5
	v_fmac_f32_e32 v1, 0xcf800000, v5
	v_cvt_u32_f32_e32 v5, v5
	v_cvt_u32_f32_e32 v1, v1
	v_mul_lo_u32 v8, s2, v5
	v_mul_hi_u32 v10, s2, v1
	v_mul_lo_u32 v9, s3, v1
	v_add_u32_e32 v10, v10, v8
	v_mul_lo_u32 v12, s2, v1
	v_add_u32_e32 v13, v10, v9
	v_mul_hi_u32 v8, v1, v12
	v_mul_hi_u32 v11, v1, v13
	v_mul_lo_u32 v10, v1, v13
	v_mov_b32_e32 v9, v4
	v_lshl_add_u64 v[8:9], v[8:9], 0, v[10:11]
	v_mul_hi_u32 v11, v5, v12
	v_mul_lo_u32 v12, v5, v12
	v_add_co_u32_e32 v8, vcc, v8, v12
	v_mul_hi_u32 v10, v5, v13
	s_nop 0
	v_addc_co_u32_e32 v8, vcc, v9, v11, vcc
	v_mov_b32_e32 v9, v4
	s_nop 0
	v_addc_co_u32_e32 v11, vcc, 0, v10, vcc
	v_mul_lo_u32 v10, v5, v13
	v_lshl_add_u64 v[8:9], v[8:9], 0, v[10:11]
	v_add_co_u32_e32 v1, vcc, v1, v8
	v_mul_lo_u32 v10, s2, v1
	s_nop 0
	v_addc_co_u32_e32 v5, vcc, v5, v9, vcc
	v_mul_lo_u32 v8, s2, v5
	v_mul_hi_u32 v9, s2, v1
	v_add_u32_e32 v8, v9, v8
	v_mul_lo_u32 v9, s3, v1
	v_add_u32_e32 v12, v8, v9
	v_mul_hi_u32 v14, v5, v10
	v_mul_lo_u32 v15, v5, v10
	v_mul_hi_u32 v9, v1, v12
	v_mul_lo_u32 v8, v1, v12
	v_mul_hi_u32 v10, v1, v10
	v_mov_b32_e32 v11, v4
	v_lshl_add_u64 v[8:9], v[10:11], 0, v[8:9]
	v_add_co_u32_e32 v8, vcc, v8, v15
	v_mul_hi_u32 v13, v5, v12
	s_nop 0
	v_addc_co_u32_e32 v8, vcc, v9, v14, vcc
	v_mul_lo_u32 v10, v5, v12
	s_nop 0
	v_addc_co_u32_e32 v11, vcc, 0, v13, vcc
	v_mov_b32_e32 v9, v4
	v_lshl_add_u64 v[8:9], v[8:9], 0, v[10:11]
	v_add_co_u32_e32 v1, vcc, v1, v8
	v_mul_hi_u32 v10, v6, v1
	s_nop 0
	v_addc_co_u32_e32 v5, vcc, v5, v9, vcc
	v_mad_u64_u32 v[8:9], s[2:3], v6, v5, 0
	v_mov_b32_e32 v11, v4
	v_lshl_add_u64 v[8:9], v[10:11], 0, v[8:9]
	v_mad_u64_u32 v[12:13], s[2:3], v7, v1, 0
	v_add_co_u32_e32 v1, vcc, v8, v12
	v_mad_u64_u32 v[10:11], s[2:3], v7, v5, 0
	s_nop 0
	v_addc_co_u32_e32 v8, vcc, v9, v13, vcc
	v_mov_b32_e32 v9, v4
	s_nop 0
	v_addc_co_u32_e32 v11, vcc, 0, v11, vcc
	v_lshl_add_u64 v[8:9], v[8:9], 0, v[10:11]
	v_mul_lo_u32 v1, s19, v8
	v_mul_lo_u32 v5, s18, v9
	v_mad_u64_u32 v[10:11], s[2:3], s18, v8, 0
	v_add3_u32 v1, v11, v5, v1
	v_sub_u32_e32 v5, v7, v1
	v_mov_b32_e32 v11, s19
	v_sub_co_u32_e32 v14, vcc, v6, v10
	v_lshl_add_u64 v[12:13], v[8:9], 0, 1
	s_nop 0
	v_subb_co_u32_e64 v5, s[2:3], v5, v11, vcc
	v_subrev_co_u32_e64 v10, s[2:3], s18, v14
	v_subb_co_u32_e32 v1, vcc, v7, v1, vcc
	s_nop 0
	v_subbrev_co_u32_e64 v5, s[2:3], 0, v5, s[2:3]
	v_cmp_le_u32_e64 s[2:3], s19, v5
	v_cmp_le_u32_e32 vcc, s19, v1
	s_nop 0
	v_cndmask_b32_e64 v11, 0, -1, s[2:3]
	v_cmp_le_u32_e64 s[2:3], s18, v10
	s_nop 1
	v_cndmask_b32_e64 v10, 0, -1, s[2:3]
	v_cmp_eq_u32_e64 s[2:3], s19, v5
	s_nop 1
	v_cndmask_b32_e64 v5, v11, v10, s[2:3]
	v_lshl_add_u64 v[10:11], v[8:9], 0, 2
	v_cmp_ne_u32_e64 s[2:3], 0, v5
	s_nop 1
	v_cndmask_b32_e64 v5, v13, v11, s[2:3]
	v_cndmask_b32_e64 v11, 0, -1, vcc
	v_cmp_le_u32_e32 vcc, s18, v14
	s_nop 1
	v_cndmask_b32_e64 v13, 0, -1, vcc
	v_cmp_eq_u32_e32 vcc, s19, v1
	s_nop 1
	v_cndmask_b32_e32 v1, v11, v13, vcc
	v_cmp_ne_u32_e32 vcc, 0, v1
	v_cndmask_b32_e64 v1, v12, v10, s[2:3]
	s_nop 0
	v_cndmask_b32_e32 v9, v9, v5, vcc
	v_cndmask_b32_e32 v8, v8, v1, vcc
.LBB0_4:                                ;   in Loop: Header=BB0_2 Depth=1
	s_andn2_saveexec_b64 s[2:3], s[20:21]
	s_cbranch_execz .LBB0_6
; %bb.5:                                ;   in Loop: Header=BB0_2 Depth=1
	v_cvt_f32_u32_e32 v1, s18
	s_sub_i32 s20, 0, s18
	v_rcp_iflag_f32_e32 v1, v1
	s_nop 0
	v_mul_f32_e32 v1, 0x4f7ffffe, v1
	v_cvt_u32_f32_e32 v1, v1
	v_mul_lo_u32 v5, s20, v1
	v_mul_hi_u32 v5, v1, v5
	v_add_u32_e32 v1, v1, v5
	v_mul_hi_u32 v1, v6, v1
	v_mul_lo_u32 v5, v1, s18
	v_sub_u32_e32 v5, v6, v5
	v_add_u32_e32 v8, 1, v1
	v_subrev_u32_e32 v9, s18, v5
	v_cmp_le_u32_e32 vcc, s18, v5
	s_nop 1
	v_cndmask_b32_e32 v5, v5, v9, vcc
	v_cndmask_b32_e32 v1, v1, v8, vcc
	v_add_u32_e32 v8, 1, v1
	v_cmp_le_u32_e32 vcc, s18, v5
	v_mov_b32_e32 v9, v4
	s_nop 0
	v_cndmask_b32_e32 v8, v1, v8, vcc
.LBB0_6:                                ;   in Loop: Header=BB0_2 Depth=1
	s_or_b64 exec, exec, s[2:3]
	v_mad_u64_u32 v[10:11], s[2:3], v8, s18, 0
	s_load_dwordx2 s[2:3], s[12:13], 0x0
	v_mul_lo_u32 v1, v9, s18
	v_mul_lo_u32 v5, v8, s19
	v_add3_u32 v1, v11, v5, v1
	v_sub_co_u32_e32 v5, vcc, v6, v10
	s_add_u32 s14, s14, 1
	s_nop 0
	v_subb_co_u32_e32 v1, vcc, v7, v1, vcc
	s_addc_u32 s15, s15, 0
	s_waitcnt lgkmcnt(0)
	v_mul_lo_u32 v1, s2, v1
	v_mul_lo_u32 v6, s3, v5
	v_mad_u64_u32 v[2:3], s[2:3], s2, v5, v[2:3]
	s_add_u32 s12, s12, 8
	v_add3_u32 v3, v6, v3, v1
	s_addc_u32 s13, s13, 0
	v_mov_b64_e32 v[6:7], s[6:7]
	s_add_u32 s16, s16, 8
	v_cmp_ge_u64_e32 vcc, s[14:15], v[6:7]
	s_addc_u32 s17, s17, 0
	s_cbranch_vccnz .LBB0_9
; %bb.7:                                ;   in Loop: Header=BB0_2 Depth=1
	v_mov_b64_e32 v[6:7], v[8:9]
	s_branch .LBB0_2
.LBB0_8:
	v_mov_b64_e32 v[8:9], v[6:7]
.LBB0_9:
	s_lshl_b64 s[2:3], s[6:7], 3
	s_add_u32 s2, s10, s2
	s_addc_u32 s3, s11, s3
	s_load_dwordx2 s[6:7], s[2:3], 0x0
	s_load_dwordx2 s[10:11], s[0:1], 0x20
	s_mov_b32 s2, 0x2222223
	s_waitcnt lgkmcnt(0)
	v_mul_lo_u32 v1, s6, v9
	v_mul_lo_u32 v4, s7, v8
	v_mad_u64_u32 v[2:3], s[0:1], s6, v8, v[2:3]
	v_add3_u32 v3, v4, v3, v1
	v_mul_hi_u32 v1, v0, s2
	v_mul_u32_u24_e32 v1, 0x78, v1
	v_cmp_gt_u64_e64 s[0:1], s[10:11], v[8:9]
	v_sub_u32_e32 v62, v0, v1
	v_lshl_add_u64 v[60:61], v[2:3], 3, s[8:9]
	s_and_saveexec_b64 s[2:3], s[0:1]
	s_cbranch_execz .LBB0_13
; %bb.10:
	v_mov_b32_e32 v63, 0
	v_lshl_add_u64 v[0:1], v[62:63], 3, v[60:61]
	s_movk_i32 s6, 0x4000
	v_add_co_u32_e32 v4, vcc, s6, v0
	v_or_b32_e32 v14, 0x780, v62
	s_nop 0
	v_addc_co_u32_e32 v5, vcc, 0, v1, vcc
	v_add_co_u32_e32 v16, vcc, 0x1000, v0
	s_movk_i32 s6, 0x5000
	s_nop 0
	v_addc_co_u32_e32 v17, vcc, 0, v1, vcc
	v_add_co_u32_e32 v18, vcc, 0x2000, v0
	v_mov_b32_e32 v15, v63
	s_nop 0
	v_addc_co_u32_e32 v19, vcc, 0, v1, vcc
	v_add_co_u32_e32 v28, vcc, 0x3000, v0
	global_load_dwordx2 v[2:3], v[0:1], off offset:2880
	s_nop 0
	v_addc_co_u32_e32 v29, vcc, 0, v1, vcc
	global_load_dwordx2 v[6:7], v[4:5], off offset:1856
	global_load_dwordx2 v[8:9], v[0:1], off
	global_load_dwordx2 v[10:11], v[0:1], off offset:1920
	global_load_dwordx2 v[12:13], v[0:1], off offset:960
	v_lshl_add_u64 v[14:15], v[14:15], 3, v[60:61]
	global_load_dwordx2 v[20:21], v[0:1], off offset:3840
	global_load_dwordx2 v[22:23], v[16:17], off offset:704
	;; [unrolled: 1-line block ×8, first 2 shown]
	v_add_co_u32_e32 v16, vcc, s6, v0
	global_load_dwordx2 v[38:39], v[18:19], off offset:3328
	global_load_dwordx2 v[40:41], v[28:29], off offset:192
	;; [unrolled: 1-line block ×5, first 2 shown]
	global_load_dwordx2 v[48:49], v[14:15], off
	global_load_dwordx2 v[50:51], v[28:29], off offset:4032
	v_addc_co_u32_e32 v17, vcc, 0, v1, vcc
	v_add_co_u32_e32 v0, vcc, 0x6000, v0
	s_movk_i32 s6, 0x77
	s_nop 0
	v_addc_co_u32_e32 v1, vcc, 0, v1, vcc
	global_load_dwordx2 v[14:15], v[4:5], off offset:2816
	global_load_dwordx2 v[18:19], v[4:5], off offset:3776
	;; [unrolled: 1-line block ×10, first 2 shown]
	v_lshl_add_u32 v0, v62, 3, 0
	v_add_u32_e32 v1, 0x400, v0
	v_add_u32_e32 v4, 0x4000, v0
	;; [unrolled: 1-line block ×10, first 2 shown]
	v_cmp_eq_u32_e32 vcc, s6, v62
	s_waitcnt vmcnt(26)
	ds_write2_b64 v1, v[10:11], v[2:3] offset0:112 offset1:232
	s_waitcnt vmcnt(25)
	ds_write2_b64 v0, v[8:9], v[12:13] offset1:120
	s_waitcnt vmcnt(12)
	ds_write2_b64 v4, v[46:47], v[6:7] offset0:112 offset1:232
	ds_write2_b64 v5, v[20:21], v[22:23] offset0:96 offset1:216
	;; [unrolled: 1-line block ×7, first 2 shown]
	s_waitcnt vmcnt(10)
	ds_write2_b64 v73, v[48:49], v[50:51] offset0:128 offset1:248
	s_waitcnt vmcnt(8)
	ds_write2_b64 v74, v[14:15], v[18:19] offset0:96 offset1:216
	v_add_u32_e32 v1, 0x5000, v0
	s_waitcnt vmcnt(6)
	ds_write2_b64 v1, v[28:29], v[52:53] offset0:80 offset1:200
	v_add_u32_e32 v1, 0x5800, v0
	s_waitcnt vmcnt(4)
	ds_write2_b64 v1, v[54:55], v[56:57] offset0:64 offset1:184
	v_add_u32_e32 v1, 0x6000, v0
	v_add_u32_e32 v0, 0x6800, v0
	s_waitcnt vmcnt(2)
	ds_write2_b64 v1, v[58:59], v[64:65] offset0:48 offset1:168
	s_waitcnt vmcnt(0)
	ds_write2_b64 v0, v[66:67], v[68:69] offset0:32 offset1:152
	s_and_saveexec_b64 s[6:7], vcc
	s_cbranch_execz .LBB0_12
; %bb.11:
	v_add_co_u32_e32 v0, vcc, 0x7000, v60
	v_mov_b32_e32 v62, 0x77
	s_nop 0
	v_addc_co_u32_e32 v1, vcc, 0, v61, vcc
	global_load_dwordx2 v[0:1], v[0:1], off offset:128
	s_waitcnt vmcnt(0)
	ds_write_b64 v63, v[0:1] offset:28800
.LBB0_12:
	s_or_b64 exec, exec, s[6:7]
.LBB0_13:
	s_or_b64 exec, exec, s[2:3]
	v_lshlrev_b32_e32 v0, 3, v62
	v_add_u32_e32 v76, 0, v0
	s_waitcnt lgkmcnt(0)
	s_barrier
	v_sub_u32_e32 v4, 0, v0
	ds_read_b32 v0, v76
	ds_read_b32 v1, v4 offset:28800
	s_add_u32 s2, s4, 0x7030
	s_addc_u32 s3, s5, 0
	v_cmp_ne_u32_e32 vcc, 0, v62
	s_waitcnt lgkmcnt(0)
	v_add_f32_e32 v2, v1, v0
	v_sub_f32_e32 v3, v0, v1
                                        ; implicit-def: $vgpr0_vgpr1
	s_and_saveexec_b64 s[6:7], vcc
	s_xor_b64 s[6:7], exec, s[6:7]
	s_cbranch_execz .LBB0_15
; %bb.14:
	v_mov_b32_e32 v63, 0
	v_lshl_add_u64 v[0:1], v[62:63], 3, s[2:3]
	global_load_dwordx2 v[6:7], v[0:1], off
	ds_read_b32 v5, v4 offset:28804
	ds_read_b32 v11, v76 offset:4
	v_mov_b32_e32 v8, v3
	v_mov_b32_e32 v10, v2
	;; [unrolled: 1-line block ×3, first 2 shown]
	v_mov_b64_e32 v[0:1], v[62:63]
	s_waitcnt lgkmcnt(0)
	v_add_f32_e32 v9, v5, v11
	v_sub_f32_e32 v11, v11, v5
	v_mov_b32_e32 v12, v9
	s_waitcnt vmcnt(0)
	v_pk_mul_f32 v[14:15], v[8:9], v[6:7] op_sel:[0,1]
	v_pk_fma_f32 v[8:9], v[8:9], v[6:7], v[10:11] op_sel:[0,1,0]
	v_mov_b32_e32 v3, v15
	v_mov_b32_e32 v15, v11
	v_pk_fma_f32 v[16:17], v[6:7], v[12:13], v[8:9] neg_lo:[1,0,0] neg_hi:[1,0,0]
	v_pk_fma_f32 v[8:9], v[6:7], v[12:13], v[8:9] op_sel_hi:[0,1,1]
	v_pk_add_f32 v[2:3], v[2:3], v[14:15] neg_lo:[0,1] neg_hi:[0,1]
	v_mov_b32_e32 v17, v9
	v_pk_fma_f32 v[2:3], v[6:7], v[12:13], v[2:3] op_sel_hi:[0,1,1]
	ds_write_b64 v4, v[2:3] offset:28800
	v_mov_b64_e32 v[2:3], v[16:17]
.LBB0_15:
	s_andn2_saveexec_b64 s[6:7], s[6:7]
	s_cbranch_execz .LBB0_17
; %bb.16:
	v_mov_b32_e32 v5, 0
	ds_read_b64 v[0:1], v5 offset:14400
	s_mov_b32 s8, 2.0
	s_mov_b32 s9, -2.0
	s_waitcnt lgkmcnt(0)
	v_pk_mul_f32 v[0:1], v[0:1], s[8:9]
	ds_write_b64 v5, v[0:1] offset:14400
	v_mov_b64_e32 v[0:1], 0
.LBB0_17:
	s_or_b64 exec, exec, s[6:7]
	v_lshl_add_u64 v[0:1], v[0:1], 3, s[2:3]
	global_load_dwordx2 v[6:7], v[0:1], off offset:960
	global_load_dwordx2 v[8:9], v[0:1], off offset:1920
	;; [unrolled: 1-line block ×3, first 2 shown]
	ds_write_b64 v76, v[2:3]
	ds_read_b64 v[2:3], v76 offset:960
	ds_read_b64 v[12:13], v4 offset:27840
	global_load_dwordx2 v[14:15], v[0:1], off offset:3840
	s_movk_i32 s9, 0x1000
	s_movk_i32 s16, 0x2000
	;; [unrolled: 1-line block ×3, first 2 shown]
	s_waitcnt lgkmcnt(0)
	v_pk_add_f32 v[16:17], v[2:3], v[12:13] neg_lo:[0,1] neg_hi:[0,1]
	v_pk_add_f32 v[2:3], v[2:3], v[12:13]
	v_mov_b32_e32 v12, v16
	v_mov_b32_e32 v13, v3
	;; [unrolled: 1-line block ×6, first 2 shown]
	v_add_u32_e32 v79, 0x1400, v76
	v_add_u32_e32 v78, 0x2c00, v76
	v_add_u32_e32 v63, 0x4000, v76
	v_add_u32_e32 v77, 0x5800, v76
	v_add_u32_e32 v87, 0x2400, v76
	v_add_u32_e32 v85, 0x3800, v76
	v_add_u32_e32 v82, 0x5000, v76
	v_add_u32_e32 v80, 0x6800, v76
	v_add_u32_e32 v81, 0xc00, v76
	s_mov_b32 s2, 0x3f737871
	v_add_u32_e32 v83, 0x1c00, v76
	v_add_u32_e32 v84, 0x3400, v76
	;; [unrolled: 1-line block ×4, first 2 shown]
	s_mov_b32 s10, 0x3f167918
	s_mov_b32 s6, 0x3f4f1bbd
	;; [unrolled: 1-line block ×5, first 2 shown]
	v_add_u32_e32 v88, 0x400, v76
	s_mov_b32 s14, 0xbf167918
	s_mov_b32 s15, s10
	s_waitcnt vmcnt(3)
	v_pk_mul_f32 v[22:23], v[12:13], v[6:7] op_sel:[0,1]
	v_pk_fma_f32 v[12:13], v[12:13], v[6:7], v[18:19] op_sel:[0,1,0]
	v_mov_b32_e32 v3, v23
	v_mov_b32_e32 v23, v17
	v_pk_fma_f32 v[18:19], v[6:7], v[20:21], v[12:13] neg_lo:[1,0,0] neg_hi:[1,0,0]
	v_pk_fma_f32 v[12:13], v[6:7], v[20:21], v[12:13] op_sel_hi:[0,1,1]
	v_pk_add_f32 v[2:3], v[2:3], v[22:23] neg_lo:[0,1] neg_hi:[0,1]
	v_mov_b32_e32 v19, v13
	v_pk_fma_f32 v[2:3], v[6:7], v[20:21], v[2:3] op_sel_hi:[0,1,1]
	v_add_co_u32_e32 v12, vcc, s9, v0
	ds_write_b64 v76, v[18:19] offset:960
	ds_write_b64 v4, v[2:3] offset:27840
	v_addc_co_u32_e32 v13, vcc, 0, v1, vcc
	ds_read_b64 v[2:3], v4 offset:26880
	ds_read_b64 v[6:7], v76 offset:1920
	global_load_dwordx2 v[16:17], v[12:13], off offset:704
	s_waitcnt lgkmcnt(0)
	v_pk_add_f32 v[18:19], v[6:7], v[2:3] neg_lo:[0,1] neg_hi:[0,1]
	v_pk_add_f32 v[2:3], v[6:7], v[2:3]
	v_mov_b32_e32 v6, v18
	v_mov_b32_e32 v7, v3
	v_mov_b32_e32 v20, v2
	v_mov_b32_e32 v21, v19
	s_waitcnt vmcnt(3)
	v_pk_mul_f32 v[24:25], v[6:7], v[8:9] op_sel:[0,1]
	v_mov_b32_e32 v22, v3
	v_mov_b32_e32 v23, v18
	v_pk_fma_f32 v[6:7], v[6:7], v[8:9], v[20:21] op_sel:[0,1,0]
	v_mov_b32_e32 v3, v25
	v_mov_b32_e32 v25, v19
	v_pk_fma_f32 v[20:21], v[8:9], v[22:23], v[6:7] neg_lo:[1,0,0] neg_hi:[1,0,0]
	v_pk_fma_f32 v[6:7], v[8:9], v[22:23], v[6:7] op_sel_hi:[0,1,1]
	v_pk_add_f32 v[2:3], v[2:3], v[24:25] neg_lo:[0,1] neg_hi:[0,1]
	v_mov_b32_e32 v21, v7
	v_pk_fma_f32 v[2:3], v[8:9], v[22:23], v[2:3] op_sel_hi:[0,1,1]
	ds_write_b64 v76, v[20:21] offset:1920
	ds_write_b64 v4, v[2:3] offset:26880
	ds_read_b64 v[2:3], v4 offset:25920
	ds_read_b64 v[6:7], v76 offset:2880
	global_load_dwordx2 v[8:9], v[12:13], off offset:1664
	s_waitcnt lgkmcnt(0)
	v_pk_add_f32 v[18:19], v[6:7], v[2:3] neg_lo:[0,1] neg_hi:[0,1]
	v_pk_add_f32 v[2:3], v[6:7], v[2:3]
	v_mov_b32_e32 v6, v18
	v_mov_b32_e32 v7, v3
	v_mov_b32_e32 v20, v2
	v_mov_b32_e32 v21, v19
	s_waitcnt vmcnt(3)
	v_pk_mul_f32 v[24:25], v[6:7], v[10:11] op_sel:[0,1]
	v_mov_b32_e32 v22, v3
	v_mov_b32_e32 v23, v18
	v_pk_fma_f32 v[6:7], v[6:7], v[10:11], v[20:21] op_sel:[0,1,0]
	v_mov_b32_e32 v3, v25
	v_mov_b32_e32 v25, v19
	v_pk_fma_f32 v[20:21], v[10:11], v[22:23], v[6:7] neg_lo:[1,0,0] neg_hi:[1,0,0]
	v_pk_fma_f32 v[6:7], v[10:11], v[22:23], v[6:7] op_sel_hi:[0,1,1]
	v_pk_add_f32 v[2:3], v[2:3], v[24:25] neg_lo:[0,1] neg_hi:[0,1]
	v_mov_b32_e32 v21, v7
	v_pk_fma_f32 v[2:3], v[10:11], v[22:23], v[2:3] op_sel_hi:[0,1,1]
	ds_write_b64 v76, v[20:21] offset:2880
	ds_write_b64 v4, v[2:3] offset:25920
	;; [unrolled: 24-line block ×3, first 2 shown]
	ds_read_b64 v[2:3], v4 offset:24000
	ds_read_b64 v[6:7], v76 offset:4800
	global_load_dwordx2 v[12:13], v[12:13], off offset:3584
	s_waitcnt lgkmcnt(0)
	v_pk_add_f32 v[14:15], v[6:7], v[2:3] neg_lo:[0,1] neg_hi:[0,1]
	v_pk_add_f32 v[2:3], v[6:7], v[2:3]
	v_mov_b32_e32 v6, v14
	v_mov_b32_e32 v7, v3
	;; [unrolled: 1-line block ×4, first 2 shown]
	s_waitcnt vmcnt(3)
	v_pk_mul_f32 v[22:23], v[6:7], v[16:17] op_sel:[0,1]
	v_mov_b32_e32 v20, v3
	v_mov_b32_e32 v21, v14
	v_pk_fma_f32 v[6:7], v[6:7], v[16:17], v[18:19] op_sel:[0,1,0]
	v_mov_b32_e32 v3, v23
	v_mov_b32_e32 v23, v15
	v_pk_fma_f32 v[18:19], v[16:17], v[20:21], v[6:7] neg_lo:[1,0,0] neg_hi:[1,0,0]
	v_pk_fma_f32 v[6:7], v[16:17], v[20:21], v[6:7] op_sel_hi:[0,1,1]
	v_pk_add_f32 v[2:3], v[2:3], v[22:23] neg_lo:[0,1] neg_hi:[0,1]
	v_mov_b32_e32 v19, v7
	v_pk_fma_f32 v[2:3], v[16:17], v[20:21], v[2:3] op_sel_hi:[0,1,1]
	v_add_co_u32_e32 v14, vcc, s16, v0
	ds_write_b64 v76, v[18:19] offset:4800
	ds_write_b64 v4, v[2:3] offset:24000
	v_addc_co_u32_e32 v15, vcc, 0, v1, vcc
	ds_read_b64 v[2:3], v4 offset:23040
	ds_read_b64 v[6:7], v76 offset:5760
	global_load_dwordx2 v[16:17], v[14:15], off offset:448
	v_add_co_u32_e32 v0, vcc, s17, v0
	s_waitcnt lgkmcnt(0)
	v_pk_add_f32 v[18:19], v[6:7], v[2:3] neg_lo:[0,1] neg_hi:[0,1]
	v_pk_add_f32 v[2:3], v[6:7], v[2:3]
	v_mov_b32_e32 v6, v18
	v_mov_b32_e32 v7, v3
	;; [unrolled: 1-line block ×4, first 2 shown]
	s_waitcnt vmcnt(3)
	v_pk_mul_f32 v[24:25], v[6:7], v[8:9] op_sel:[0,1]
	v_mov_b32_e32 v22, v3
	v_mov_b32_e32 v23, v18
	v_pk_fma_f32 v[6:7], v[6:7], v[8:9], v[20:21] op_sel:[0,1,0]
	v_mov_b32_e32 v3, v25
	v_mov_b32_e32 v25, v19
	v_pk_fma_f32 v[20:21], v[8:9], v[22:23], v[6:7] neg_lo:[1,0,0] neg_hi:[1,0,0]
	v_pk_fma_f32 v[6:7], v[8:9], v[22:23], v[6:7] op_sel_hi:[0,1,1]
	v_pk_add_f32 v[2:3], v[2:3], v[24:25] neg_lo:[0,1] neg_hi:[0,1]
	v_mov_b32_e32 v21, v7
	v_pk_fma_f32 v[2:3], v[8:9], v[22:23], v[2:3] op_sel_hi:[0,1,1]
	ds_write_b64 v76, v[20:21] offset:5760
	ds_write_b64 v4, v[2:3] offset:23040
	ds_read_b64 v[2:3], v4 offset:22080
	ds_read_b64 v[6:7], v76 offset:6720
	global_load_dwordx2 v[22:23], v[14:15], off offset:1408
	v_addc_co_u32_e32 v1, vcc, 0, v1, vcc
	s_waitcnt lgkmcnt(0)
	v_pk_add_f32 v[8:9], v[6:7], v[2:3] neg_lo:[0,1] neg_hi:[0,1]
	v_pk_add_f32 v[2:3], v[6:7], v[2:3]
	v_mov_b32_e32 v6, v8
	v_mov_b32_e32 v7, v3
	v_mov_b32_e32 v18, v2
	v_mov_b32_e32 v19, v9
	s_waitcnt vmcnt(3)
	v_pk_mul_f32 v[20:21], v[6:7], v[10:11] op_sel:[0,1]
	v_pk_fma_f32 v[6:7], v[6:7], v[10:11], v[18:19] op_sel:[0,1,0]
	v_mov_b32_e32 v18, v3
	v_mov_b32_e32 v19, v8
	v_mov_b32_e32 v3, v21
	v_mov_b32_e32 v21, v9
	v_pk_fma_f32 v[24:25], v[10:11], v[18:19], v[6:7] neg_lo:[1,0,0] neg_hi:[1,0,0]
	v_pk_fma_f32 v[6:7], v[10:11], v[18:19], v[6:7] op_sel_hi:[0,1,1]
	v_pk_add_f32 v[2:3], v[2:3], v[20:21] neg_lo:[0,1] neg_hi:[0,1]
	v_mov_b32_e32 v25, v7
	v_pk_fma_f32 v[2:3], v[10:11], v[18:19], v[2:3] op_sel_hi:[0,1,1]
	ds_write_b64 v76, v[24:25] offset:6720
	ds_write_b64 v4, v[2:3] offset:22080
	ds_read_b64 v[2:3], v4 offset:21120
	ds_read_b64 v[6:7], v76 offset:7680
	global_load_dwordx2 v[20:21], v[14:15], off offset:2368
	s_waitcnt lgkmcnt(0)
	v_pk_add_f32 v[8:9], v[6:7], v[2:3] neg_lo:[0,1] neg_hi:[0,1]
	v_pk_add_f32 v[2:3], v[6:7], v[2:3]
	v_mov_b32_e32 v6, v8
	v_mov_b32_e32 v7, v3
	v_mov_b32_e32 v10, v2
	v_mov_b32_e32 v11, v9
	s_waitcnt vmcnt(3)
	v_pk_mul_f32 v[18:19], v[6:7], v[12:13] op_sel:[0,1]
	v_pk_fma_f32 v[6:7], v[6:7], v[12:13], v[10:11] op_sel:[0,1,0]
	v_mov_b32_e32 v10, v3
	v_mov_b32_e32 v11, v8
	v_mov_b32_e32 v3, v19
	v_mov_b32_e32 v19, v9
	v_pk_fma_f32 v[24:25], v[12:13], v[10:11], v[6:7] neg_lo:[1,0,0] neg_hi:[1,0,0]
	v_pk_fma_f32 v[6:7], v[12:13], v[10:11], v[6:7] op_sel_hi:[0,1,1]
	v_pk_add_f32 v[2:3], v[2:3], v[18:19] neg_lo:[0,1] neg_hi:[0,1]
	v_mov_b32_e32 v25, v7
	v_pk_fma_f32 v[2:3], v[12:13], v[10:11], v[2:3] op_sel_hi:[0,1,1]
	ds_write_b64 v76, v[24:25] offset:7680
	ds_write_b64 v4, v[2:3] offset:21120
	ds_read_b64 v[2:3], v4 offset:20160
	ds_read_b64 v[6:7], v76 offset:8640
	global_load_dwordx2 v[12:13], v[14:15], off offset:3328
	;; [unrolled: 24-line block ×4, first 2 shown]
	s_waitcnt lgkmcnt(0)
	v_pk_add_f32 v[8:9], v[6:7], v[2:3] neg_lo:[0,1] neg_hi:[0,1]
	v_pk_add_f32 v[2:3], v[6:7], v[2:3]
	v_mov_b32_e32 v6, v8
	v_mov_b32_e32 v7, v3
	v_mov_b32_e32 v14, v2
	v_mov_b32_e32 v15, v9
	s_waitcnt vmcnt(3)
	v_pk_mul_f32 v[16:17], v[6:7], v[20:21] op_sel:[0,1]
	v_pk_fma_f32 v[6:7], v[6:7], v[20:21], v[14:15] op_sel:[0,1,0]
	v_mov_b32_e32 v14, v3
	v_mov_b32_e32 v15, v8
	v_mov_b32_e32 v3, v17
	v_mov_b32_e32 v17, v9
	v_pk_fma_f32 v[18:19], v[20:21], v[14:15], v[6:7] neg_lo:[1,0,0] neg_hi:[1,0,0]
	v_pk_fma_f32 v[6:7], v[20:21], v[14:15], v[6:7] op_sel_hi:[0,1,1]
	v_pk_add_f32 v[2:3], v[2:3], v[16:17] neg_lo:[0,1] neg_hi:[0,1]
	v_mov_b32_e32 v19, v7
	v_pk_fma_f32 v[2:3], v[20:21], v[14:15], v[2:3] op_sel_hi:[0,1,1]
	ds_write_b64 v76, v[18:19] offset:10560
	ds_write_b64 v4, v[2:3] offset:18240
	ds_read_b64 v[2:3], v4 offset:17280
	ds_read_b64 v[6:7], v76 offset:11520
	s_waitcnt lgkmcnt(0)
	v_pk_add_f32 v[8:9], v[6:7], v[2:3] neg_lo:[0,1] neg_hi:[0,1]
	v_pk_add_f32 v[2:3], v[6:7], v[2:3]
	v_mov_b32_e32 v6, v8
	v_mov_b32_e32 v7, v3
	v_mov_b32_e32 v14, v2
	v_mov_b32_e32 v15, v9
	s_waitcnt vmcnt(2)
	v_pk_mul_f32 v[16:17], v[6:7], v[12:13] op_sel:[0,1]
	v_pk_fma_f32 v[6:7], v[6:7], v[12:13], v[14:15] op_sel:[0,1,0]
	v_mov_b32_e32 v14, v3
	v_mov_b32_e32 v15, v8
	v_mov_b32_e32 v3, v17
	v_mov_b32_e32 v17, v9
	v_pk_fma_f32 v[18:19], v[12:13], v[14:15], v[6:7] neg_lo:[1,0,0] neg_hi:[1,0,0]
	v_pk_fma_f32 v[6:7], v[12:13], v[14:15], v[6:7] op_sel_hi:[0,1,1]
	v_pk_add_f32 v[2:3], v[2:3], v[16:17] neg_lo:[0,1] neg_hi:[0,1]
	v_mov_b32_e32 v19, v7
	v_pk_fma_f32 v[2:3], v[12:13], v[14:15], v[2:3] op_sel_hi:[0,1,1]
	ds_write_b64 v76, v[18:19] offset:11520
	ds_write_b64 v4, v[2:3] offset:17280
	ds_read_b64 v[2:3], v4 offset:16320
	ds_read_b64 v[6:7], v76 offset:12480
	;; [unrolled: 23-line block ×3, first 2 shown]
	s_waitcnt lgkmcnt(0)
	v_pk_add_f32 v[8:9], v[6:7], v[2:3] neg_lo:[0,1] neg_hi:[0,1]
	v_pk_add_f32 v[2:3], v[6:7], v[2:3]
	v_mov_b32_e32 v6, v8
	v_mov_b32_e32 v7, v3
	;; [unrolled: 1-line block ×4, first 2 shown]
	s_waitcnt vmcnt(0)
	v_pk_mul_f32 v[12:13], v[6:7], v[0:1] op_sel:[0,1]
	v_pk_fma_f32 v[6:7], v[6:7], v[0:1], v[10:11] op_sel:[0,1,0]
	v_mov_b32_e32 v10, v3
	v_mov_b32_e32 v11, v8
	;; [unrolled: 1-line block ×4, first 2 shown]
	v_pk_fma_f32 v[14:15], v[0:1], v[10:11], v[6:7] neg_lo:[1,0,0] neg_hi:[1,0,0]
	v_pk_fma_f32 v[6:7], v[0:1], v[10:11], v[6:7] op_sel_hi:[0,1,1]
	v_pk_add_f32 v[2:3], v[2:3], v[12:13] neg_lo:[0,1] neg_hi:[0,1]
	v_mov_b32_e32 v15, v7
	v_pk_fma_f32 v[0:1], v[0:1], v[10:11], v[2:3] op_sel_hi:[0,1,1]
	ds_write_b64 v76, v[14:15] offset:13440
	ds_write_b64 v4, v[0:1] offset:15360
	s_waitcnt lgkmcnt(0)
	s_barrier
	s_barrier
	ds_read2_b64 v[0:3], v79 offset0:80 offset1:200
	ds_read2_b64 v[4:7], v78 offset0:32 offset1:152
	;; [unrolled: 1-line block ×9, first 2 shown]
	s_waitcnt lgkmcnt(7)
	v_pk_add_f32 v[36:37], v[6:7], v[2:3] neg_lo:[0,1] neg_hi:[0,1]
	s_waitcnt lgkmcnt(5)
	v_pk_add_f32 v[38:39], v[10:11], v[14:15] neg_lo:[0,1] neg_hi:[0,1]
	;; [unrolled: 2-line block ×3, first 2 shown]
	v_pk_add_f32 v[36:37], v[36:37], v[38:39]
	s_waitcnt lgkmcnt(1)
	v_pk_add_f32 v[38:39], v[32:33], v[24:25]
	v_pk_mul_f32 v[40:41], v[90:91], s[2:3] op_sel_hi:[1,0]
	s_waitcnt lgkmcnt(0)
	v_pk_fma_f32 v[38:39], v[38:39], 0.5, v[16:17] op_sel_hi:[1,0,1] neg_lo:[1,0,0] neg_hi:[1,0,0]
	v_pk_add_f32 v[42:43], v[28:29], v[32:33] neg_lo:[0,1] neg_hi:[0,1]
	v_pk_add_f32 v[44:45], v[20:21], v[24:25] neg_lo:[0,1] neg_hi:[0,1]
	v_pk_add_f32 v[56:57], v[38:39], v[40:41] op_sel:[0,1] op_sel_hi:[1,0] neg_lo:[0,1] neg_hi:[0,1]
	v_pk_add_f32 v[92:93], v[42:43], v[44:45]
	v_pk_add_f32 v[38:39], v[38:39], v[40:41] op_sel:[0,1] op_sel_hi:[1,0]
	ds_read2_b64 v[48:51], v83 offset0:64 offset1:184
	ds_read2_b64 v[40:43], v86 offset0:48 offset1:168
	;; [unrolled: 1-line block ×4, first 2 shown]
	v_pk_add_f32 v[66:67], v[0:1], v[12:13] neg_lo:[0,1] neg_hi:[0,1]
	v_pk_add_f32 v[68:69], v[4:5], v[8:9] neg_lo:[0,1] neg_hi:[0,1]
	s_waitcnt lgkmcnt(2)
	v_pk_add_f32 v[94:95], v[50:51], v[42:43] neg_lo:[0,1] neg_hi:[0,1]
	v_pk_mul_f32 v[64:65], v[68:69], s[10:11] op_sel_hi:[1,0]
	s_waitcnt lgkmcnt(0)
	v_pk_add_f32 v[74:75], v[54:55], v[46:47] neg_lo:[0,1] neg_hi:[0,1]
	v_pk_mul_f32 v[72:73], v[94:95], s[10:11] op_sel_hi:[1,0]
	v_pk_mul_f32 v[70:71], v[66:67], s[10:11] op_sel_hi:[1,0]
	v_pk_mul_f32 v[96:97], v[74:75], s[10:11] op_sel_hi:[1,0]
	s_mov_b32 s11, s6
	v_pk_add_f32 v[98:99], v[32:33], v[24:25] neg_lo:[0,1] neg_hi:[0,1]
	v_pk_mul_f32 v[90:91], v[90:91], s[10:11] op_sel_hi:[1,0]
	v_pk_mul_f32 v[58:59], v[98:99], s[10:11] op_sel_hi:[1,0]
	s_nop 0
	v_pk_add_f32 v[38:39], v[38:39], v[58:59] op_sel:[0,1] op_sel_hi:[1,0] neg_lo:[0,1] neg_hi:[0,1]
	v_pk_add_f32 v[100:101], v[56:57], v[58:59] op_sel:[0,1] op_sel_hi:[1,0]
	v_mov_b32_e32 v57, v39
	v_mov_b32_e32 v56, v100
	v_pk_fma_f32 v[102:103], v[92:93], s[8:9], v[56:57] op_sel_hi:[1,0,1]
	ds_read2_b64 v[56:59], v76 offset1:120
	v_pk_mul_f32 v[104:105], v[102:103], s[2:3] op_sel_hi:[1,0]
	v_mov_b32_e32 v39, v101
	v_pk_fma_f32 v[106:107], v[102:103], s[8:9], v[104:105] op_sel:[0,0,1] op_sel_hi:[1,0,0]
	v_pk_fma_f32 v[102:103], v[102:103], s[8:9], v[104:105] op_sel:[0,0,1] op_sel_hi:[1,0,0] neg_lo:[0,0,1] neg_hi:[0,0,1]
	v_pk_add_f32 v[104:105], v[6:7], v[10:11] neg_lo:[0,1] neg_hi:[0,1]
	v_mov_b32_e32 v107, v103
	v_pk_add_f32 v[102:103], v[2:3], v[14:15]
	v_pk_mul_f32 v[108:109], v[104:105], s[2:3] op_sel_hi:[1,0]
	s_waitcnt lgkmcnt(0)
	v_pk_fma_f32 v[102:103], v[102:103], 0.5, v[58:59] op_sel_hi:[1,0,1] neg_lo:[1,0,0] neg_hi:[1,0,0]
	v_pk_fma_f32 v[38:39], v[92:93], s[8:9], v[38:39] op_sel_hi:[1,0,1]
	v_pk_add_f32 v[110:111], v[102:103], v[108:109] op_sel:[0,1] op_sel_hi:[1,0] neg_lo:[0,1] neg_hi:[0,1]
	v_pk_add_f32 v[102:103], v[102:103], v[108:109] op_sel:[0,1] op_sel_hi:[1,0]
	v_pk_add_f32 v[108:109], v[2:3], v[14:15] neg_lo:[0,1] neg_hi:[0,1]
	v_pk_mul_f32 v[92:93], v[38:39], s[8:9] op_sel_hi:[1,0]
	v_pk_mul_f32 v[112:113], v[108:109], s[10:11] op_sel_hi:[1,0]
	v_pk_fma_f32 v[92:93], v[38:39], s[12:13], v[92:93] op_sel:[0,0,1] op_sel_hi:[1,1,0] neg_lo:[0,0,1] neg_hi:[0,0,1]
	v_pk_add_f32 v[102:103], v[102:103], v[112:113] op_sel:[0,1] op_sel_hi:[1,0] neg_lo:[0,1] neg_hi:[0,1]
	v_pk_add_f32 v[110:111], v[110:111], v[112:113] op_sel:[0,1] op_sel_hi:[1,0]
	v_mov_b32_e32 v39, v103
	v_mov_b32_e32 v38, v110
	;; [unrolled: 1-line block ×3, first 2 shown]
	v_pk_fma_f32 v[100:101], v[36:37], s[8:9], v[38:39] op_sel_hi:[1,0,1]
	v_pk_fma_f32 v[102:103], v[36:37], s[8:9], v[102:103] op_sel_hi:[1,0,1]
	s_movk_i32 s3, 0x48
	ds_read2_b64 v[36:39], v88 offset0:112 offset1:232
	v_mad_u32_u24 v126, v62, s3, v76
	v_add_u32_e32 v114, 0x2590, v126
	v_pk_add_f32 v[110:111], v[100:101], v[106:107]
	v_pk_add_f32 v[112:113], v[102:103], v[92:93] op_sel:[0,1] op_sel_hi:[1,0]
	s_waitcnt lgkmcnt(0)
	s_barrier
	ds_write2_b64 v114, v[110:111], v[112:113] offset1:1
	v_pk_add_f32 v[110:111], v[50:51], v[54:55] neg_lo:[0,1] neg_hi:[0,1]
	v_pk_add_f32 v[112:113], v[42:43], v[46:47] neg_lo:[0,1] neg_hi:[0,1]
	v_pk_mul_f32 v[94:95], v[94:95], s[2:3] op_sel_hi:[1,0]
	v_pk_add_f32 v[110:111], v[110:111], v[112:113]
	v_pk_add_f32 v[112:113], v[54:55], v[46:47]
	v_pk_mul_f32 v[108:109], v[108:109], s[2:3] op_sel_hi:[1,0]
	v_pk_fma_f32 v[112:113], v[112:113], 0.5, v[38:39] op_sel_hi:[1,0,1] neg_lo:[1,0,0] neg_hi:[1,0,0]
	v_pk_mul_f32 v[104:105], v[104:105], s[10:11] op_sel_hi:[1,0]
	v_pk_add_f32 v[114:115], v[112:113], v[94:95] op_sel:[0,1] op_sel_hi:[1,0]
	v_pk_add_f32 v[94:95], v[112:113], v[94:95] op_sel:[0,1] op_sel_hi:[1,0] neg_lo:[0,1] neg_hi:[0,1]
	v_pk_add_f32 v[112:113], v[96:97], v[114:115] op_sel:[1,0] op_sel_hi:[0,1]
	v_pk_add_f32 v[94:95], v[94:95], v[96:97] op_sel:[0,1] op_sel_hi:[1,0] neg_lo:[0,1] neg_hi:[0,1]
	v_pk_add_f32 v[96:97], v[2:3], v[6:7] neg_lo:[0,1] neg_hi:[0,1]
	v_pk_add_f32 v[114:115], v[14:15], v[10:11] neg_lo:[0,1] neg_hi:[0,1]
	v_pk_mul_f32 v[98:99], v[98:99], s[2:3] op_sel_hi:[1,0]
	v_pk_add_f32 v[96:97], v[96:97], v[114:115]
	v_pk_add_f32 v[114:115], v[6:7], v[10:11]
	;; [unrolled: 1-line block ×3, first 2 shown]
	v_pk_fma_f32 v[114:115], v[114:115], 0.5, v[58:59] op_sel_hi:[1,0,1] neg_lo:[1,0,0] neg_hi:[1,0,0]
	v_pk_add_f32 v[2:3], v[2:3], v[6:7]
	v_pk_add_f32 v[116:117], v[114:115], v[108:109] op_sel:[0,1] op_sel_hi:[1,0]
	v_pk_add_f32 v[108:109], v[114:115], v[108:109] op_sel:[0,1] op_sel_hi:[1,0] neg_lo:[0,1] neg_hi:[0,1]
	v_pk_add_f32 v[114:115], v[32:33], v[28:29] neg_lo:[0,1] neg_hi:[0,1]
	v_pk_add_f32 v[108:109], v[108:109], v[104:105] op_sel:[0,1] op_sel_hi:[1,0] neg_lo:[0,1] neg_hi:[0,1]
	v_pk_add_f32 v[104:105], v[116:117], v[104:105] op_sel:[0,1] op_sel_hi:[1,0]
	v_pk_add_f32 v[116:117], v[24:25], v[20:21] neg_lo:[0,1] neg_hi:[0,1]
	v_pk_add_f32 v[6:7], v[16:17], v[32:33]
	v_pk_add_f32 v[114:115], v[114:115], v[116:117]
	;; [unrolled: 1-line block ×4, first 2 shown]
	v_pk_fma_f32 v[116:117], v[116:117], 0.5, v[16:17] op_sel_hi:[1,0,1] neg_lo:[1,0,0] neg_hi:[1,0,0]
	v_pk_add_f32 v[2:3], v[2:3], v[10:11]
	v_pk_add_f32 v[118:119], v[116:117], v[98:99] op_sel:[0,1] op_sel_hi:[1,0]
	v_pk_add_f32 v[98:99], v[116:117], v[98:99] op_sel:[0,1] op_sel_hi:[1,0] neg_lo:[0,1] neg_hi:[0,1]
	v_pk_add_f32 v[116:117], v[90:91], v[118:119] op_sel:[1,0] op_sel_hi:[0,1]
	v_pk_add_f32 v[90:91], v[98:99], v[90:91] op_sel:[0,1] op_sel_hi:[1,0] neg_lo:[0,1] neg_hi:[0,1]
	v_pk_fma_f32 v[98:99], v[110:111], s[8:9], v[94:95] op_sel_hi:[1,0,1]
	v_mov_b32_e32 v95, v113
	v_pk_fma_f32 v[94:95], v[110:111], s[8:9], v[94:95] op_sel_hi:[1,0,1]
	v_pk_fma_f32 v[120:121], v[114:115], s[8:9], v[116:117] op_sel_hi:[1,0,1]
	v_pk_mul_f32 v[118:119], v[94:95], s[6:7] op_sel_hi:[1,0]
	s_mov_b32 s7, s10
	v_pk_mul_f32 v[120:121], v[120:121], s[6:7] op_sel_hi:[0,1]
	v_pk_fma_f32 v[122:123], v[114:115], s[8:9], v[90:91] op_sel_hi:[1,0,1]
	v_pk_add_f32 v[6:7], v[6:7], v[20:21]
	v_pk_fma_f32 v[124:125], v[122:123], s[10:11], v[120:121] op_sel:[1,0,0]
	v_pk_fma_f32 v[120:121], v[122:123], s[10:11], v[120:121] op_sel:[1,0,0] neg_lo:[0,0,1] neg_hi:[0,0,1]
	v_mov_b32_e32 v10, v104
	v_mov_b32_e32 v11, v109
	;; [unrolled: 1-line block ×3, first 2 shown]
	v_pk_add_f32 v[2:3], v[2:3], v[14:15]
	v_pk_add_f32 v[6:7], v[6:7], v[24:25]
	v_pk_fma_f32 v[10:11], v[96:97], s[8:9], v[10:11] op_sel_hi:[1,0,1]
	v_add_u32_e32 v20, 0x2580, v126
	v_pk_add_f32 v[14:15], v[2:3], v[6:7]
	v_pk_add_f32 v[16:17], v[10:11], v[124:125]
	v_mov_b32_e32 v91, v117
	ds_write2_b64 v20, v[14:15], v[16:17] offset1:1
	v_pk_fma_f32 v[16:17], v[114:115], s[8:9], v[90:91] op_sel_hi:[1,0,1]
	v_mov_b32_e32 v109, v105
	v_pk_mul_f32 v[20:21], v[16:17], s[6:7] op_sel_hi:[1,0]
	v_pk_fma_f32 v[14:15], v[96:97], s[8:9], v[108:109] op_sel_hi:[1,0,1]
	v_pk_fma_f32 v[16:17], v[16:17], s[14:15], v[20:21] op_sel:[0,0,1] op_sel_hi:[1,1,0] neg_lo:[0,0,1] neg_hi:[0,0,1]
	v_pk_add_f32 v[2:3], v[2:3], v[6:7] neg_lo:[0,1] neg_hi:[0,1]
	v_pk_add_f32 v[6:7], v[14:15], v[16:17] op_sel:[1,0] op_sel_hi:[0,1]
	v_mov_b32_e32 v20, v7
	v_mov_b32_e32 v21, v6
	v_add_u32_e32 v6, 0x25a0, v126
	ds_write2_b64 v6, v[20:21], v[2:3] offset1:1
	v_pk_add_f32 v[2:3], v[10:11], v[124:125] neg_lo:[0,1] neg_hi:[0,1]
	v_pk_add_f32 v[6:7], v[100:101], v[106:107] neg_lo:[0,1] neg_hi:[0,1]
	v_add_u32_e32 v10, 0x25b0, v126
	ds_write2_b64 v10, v[2:3], v[6:7] offset1:1
	v_pk_add_f32 v[6:7], v[14:15], v[16:17] op_sel:[1,0] op_sel_hi:[0,1] neg_lo:[0,1] neg_hi:[0,1]
	v_pk_add_f32 v[2:3], v[102:103], v[92:93] op_sel:[0,1] op_sel_hi:[1,0] neg_lo:[0,1] neg_hi:[0,1]
	v_mov_b32_e32 v10, v7
	v_mov_b32_e32 v11, v6
	v_add_u32_e32 v6, 0x25c0, v126
	ds_write2_b64 v6, v[2:3], v[10:11] offset1:1
	v_pk_add_f32 v[2:3], v[52:53], v[48:49] neg_lo:[0,1] neg_hi:[0,1]
	v_pk_add_f32 v[6:7], v[44:45], v[40:41] neg_lo:[0,1] neg_hi:[0,1]
	v_pk_add_f32 v[10:11], v[22:23], v[26:27] neg_lo:[0,1] neg_hi:[0,1]
	v_pk_add_f32 v[2:3], v[2:3], v[6:7]
	v_pk_add_f32 v[6:7], v[30:31], v[34:35] neg_lo:[0,1] neg_hi:[0,1]
	v_pk_add_f32 v[14:15], v[30:31], v[22:23] neg_lo:[0,1] neg_hi:[0,1]
	v_pk_add_f32 v[6:7], v[6:7], v[10:11]
	v_pk_add_f32 v[10:11], v[34:35], v[26:27]
	v_pk_mul_f32 v[16:17], v[14:15], s[2:3] op_sel_hi:[1,0]
	v_pk_fma_f32 v[10:11], v[10:11], 0.5, v[18:19] op_sel_hi:[1,0,1] neg_lo:[1,0,0] neg_hi:[1,0,0]
	v_pk_add_f32 v[96:97], v[36:37], v[48:49]
	v_pk_add_f32 v[20:21], v[10:11], v[16:17] op_sel:[0,1] op_sel_hi:[1,0] neg_lo:[0,1] neg_hi:[0,1]
	v_pk_add_f32 v[10:11], v[10:11], v[16:17] op_sel:[0,1] op_sel_hi:[1,0]
	v_pk_add_f32 v[16:17], v[34:35], v[26:27] neg_lo:[0,1] neg_hi:[0,1]
	v_pk_mul_f32 v[14:15], v[14:15], s[10:11] op_sel_hi:[1,0]
	v_pk_mul_f32 v[24:25], v[16:17], s[10:11] op_sel_hi:[1,0]
	s_nop 0
	v_pk_add_f32 v[10:11], v[10:11], v[24:25] op_sel:[0,1] op_sel_hi:[1,0] neg_lo:[0,1] neg_hi:[0,1]
	v_pk_add_f32 v[20:21], v[20:21], v[24:25] op_sel:[0,1] op_sel_hi:[1,0]
	v_mov_b32_e32 v25, v11
	v_mov_b32_e32 v24, v20
	v_pk_fma_f32 v[24:25], v[6:7], s[8:9], v[24:25] op_sel_hi:[1,0,1]
	v_mov_b32_e32 v11, v21
	v_pk_mul_f32 v[28:29], v[24:25], s[2:3] op_sel_hi:[1,0]
	v_pk_fma_f32 v[6:7], v[6:7], s[8:9], v[10:11] op_sel_hi:[1,0,1]
	v_pk_fma_f32 v[32:33], v[24:25], s[8:9], v[28:29] op_sel:[0,0,1] op_sel_hi:[1,0,0]
	v_pk_fma_f32 v[24:25], v[24:25], s[8:9], v[28:29] op_sel:[0,0,1] op_sel_hi:[1,0,0] neg_lo:[0,0,1] neg_hi:[0,0,1]
	v_pk_add_f32 v[28:29], v[52:53], v[44:45] neg_lo:[0,1] neg_hi:[0,1]
	v_mov_b32_e32 v33, v25
	v_pk_add_f32 v[24:25], v[48:49], v[40:41]
	v_pk_mul_f32 v[58:59], v[28:29], s[2:3] op_sel_hi:[1,0]
	v_pk_fma_f32 v[24:25], v[24:25], 0.5, v[36:37] op_sel_hi:[1,0,1] neg_lo:[1,0,0] neg_hi:[1,0,0]
	v_pk_mul_f32 v[10:11], v[6:7], s[8:9] op_sel_hi:[1,0]
	v_pk_add_f32 v[90:91], v[24:25], v[58:59] op_sel:[0,1] op_sel_hi:[1,0] neg_lo:[0,1] neg_hi:[0,1]
	v_pk_add_f32 v[24:25], v[24:25], v[58:59] op_sel:[0,1] op_sel_hi:[1,0]
	v_pk_add_f32 v[58:59], v[48:49], v[40:41] neg_lo:[0,1] neg_hi:[0,1]
	v_pk_fma_f32 v[6:7], v[6:7], s[12:13], v[10:11] op_sel:[0,0,1] op_sel_hi:[1,1,0] neg_lo:[0,0,1] neg_hi:[0,0,1]
	v_pk_mul_f32 v[92:93], v[58:59], s[10:11] op_sel_hi:[1,0]
	v_pk_add_f32 v[48:49], v[48:49], v[52:53] neg_lo:[0,1] neg_hi:[0,1]
	v_pk_add_f32 v[24:25], v[24:25], v[92:93] op_sel:[0,1] op_sel_hi:[1,0] neg_lo:[0,1] neg_hi:[0,1]
	v_pk_add_f32 v[90:91], v[90:91], v[92:93] op_sel:[0,1] op_sel_hi:[1,0]
	v_mov_b32_e32 v11, v25
	v_mov_b32_e32 v10, v90
	v_mov_b32_e32 v25, v91
	v_pk_fma_f32 v[10:11], v[2:3], s[8:9], v[10:11] op_sel_hi:[1,0,1]
	v_pk_fma_f32 v[2:3], v[2:3], s[8:9], v[24:25] op_sel_hi:[1,0,1]
	v_add_u32_e32 v90, 0x4b10, v126
	v_pk_add_f32 v[20:21], v[10:11], v[32:33]
	v_pk_add_f32 v[24:25], v[2:3], v[6:7] op_sel:[0,1] op_sel_hi:[1,0]
	ds_write2_b64 v90, v[20:21], v[24:25] offset1:1
	v_pk_add_f32 v[20:21], v[56:57], v[0:1]
	v_pk_add_f32 v[24:25], v[4:5], v[8:9]
	;; [unrolled: 1-line block ×3, first 2 shown]
	v_pk_add_f32 v[90:91], v[0:1], v[4:5] neg_lo:[0,1] neg_hi:[0,1]
	v_pk_add_f32 v[20:21], v[20:21], v[8:9]
	v_pk_add_f32 v[4:5], v[4:5], v[0:1] neg_lo:[0,1] neg_hi:[0,1]
	v_pk_add_f32 v[0:1], v[0:1], v[12:13]
	v_pk_add_f32 v[92:93], v[12:13], v[8:9] neg_lo:[0,1] neg_hi:[0,1]
	v_pk_add_f32 v[8:9], v[8:9], v[12:13] neg_lo:[0,1] neg_hi:[0,1]
	v_pk_add_f32 v[12:13], v[20:21], v[12:13]
	v_pk_fma_f32 v[20:21], v[24:25], 0.5, v[56:57] op_sel_hi:[1,0,1] neg_lo:[1,0,0] neg_hi:[1,0,0]
	v_pk_add_f32 v[24:25], v[38:39], v[50:51]
	v_pk_fma_f32 v[0:1], v[0:1], 0.5, v[56:57] op_sel_hi:[1,0,1] neg_lo:[1,0,0] neg_hi:[1,0,0]
	v_pk_add_f32 v[24:25], v[24:25], v[54:55]
	v_pk_add_f32 v[56:57], v[50:51], v[42:43]
	;; [unrolled: 1-line block ×3, first 2 shown]
	v_pk_add_f32 v[50:51], v[54:55], v[50:51] neg_lo:[0,1] neg_hi:[0,1]
	v_pk_add_f32 v[46:47], v[46:47], v[42:43] neg_lo:[0,1] neg_hi:[0,1]
	v_pk_add_f32 v[24:25], v[24:25], v[42:43]
	v_pk_fma_f32 v[38:39], v[56:57], 0.5, v[38:39] op_sel_hi:[1,0,1] neg_lo:[1,0,0] neg_hi:[1,0,0]
	v_pk_mul_f32 v[42:43], v[74:75], s[2:3] op_sel_hi:[1,0]
	v_pk_add_f32 v[4:5], v[4:5], v[8:9]
	v_pk_add_f32 v[8:9], v[50:51], v[46:47]
	v_pk_add_f32 v[46:47], v[38:39], v[42:43] op_sel:[0,1] op_sel_hi:[1,0] neg_lo:[0,1] neg_hi:[0,1]
	v_pk_add_f32 v[38:39], v[38:39], v[42:43] op_sel:[0,1] op_sel_hi:[1,0]
	v_pk_add_f32 v[42:43], v[46:47], v[72:73] op_sel:[0,1] op_sel_hi:[1,0]
	v_pk_add_f32 v[38:39], v[38:39], v[72:73] op_sel:[0,1] op_sel_hi:[1,0] neg_lo:[0,1] neg_hi:[0,1]
	v_mov_b32_e32 v46, v42
	v_mov_b32_e32 v47, v39
	v_pk_add_f32 v[54:55], v[96:97], v[52:53]
	v_pk_fma_f32 v[46:47], v[8:9], s[8:9], v[46:47] op_sel_hi:[1,0,1]
	v_pk_add_f32 v[54:55], v[54:55], v[44:45]
	v_pk_mul_f32 v[50:51], v[46:47], s[2:3] op_sel_hi:[1,0]
	v_pk_add_f32 v[52:53], v[52:53], v[44:45]
	v_pk_add_f32 v[44:45], v[40:41], v[44:45] neg_lo:[0,1] neg_hi:[0,1]
	v_pk_add_f32 v[40:41], v[54:55], v[40:41]
	v_pk_fma_f32 v[54:55], v[46:47], s[8:9], v[50:51] op_sel:[0,0,1] op_sel_hi:[1,0,0]
	v_pk_fma_f32 v[46:47], v[46:47], s[8:9], v[50:51] op_sel:[0,0,1] op_sel_hi:[1,0,0] neg_lo:[0,0,1] neg_hi:[0,0,1]
	v_mov_b32_e32 v39, v43
	v_mov_b32_e32 v55, v47
	v_pk_mul_f32 v[46:47], v[68:69], s[2:3] op_sel_hi:[1,0]
	v_pk_fma_f32 v[8:9], v[8:9], s[8:9], v[38:39] op_sel_hi:[1,0,1]
	v_pk_add_f32 v[50:51], v[0:1], v[46:47] op_sel:[0,1] op_sel_hi:[1,0] neg_lo:[0,1] neg_hi:[0,1]
	v_pk_add_f32 v[0:1], v[0:1], v[46:47] op_sel:[0,1] op_sel_hi:[1,0]
	v_pk_add_f32 v[46:47], v[50:51], v[70:71] op_sel:[0,1] op_sel_hi:[1,0]
	v_pk_add_f32 v[0:1], v[0:1], v[70:71] op_sel:[0,1] op_sel_hi:[1,0] neg_lo:[0,1] neg_hi:[0,1]
	v_pk_mul_f32 v[38:39], v[8:9], s[8:9] op_sel_hi:[1,0]
	v_pk_add_f32 v[56:57], v[12:13], v[24:25]
	v_pk_fma_f32 v[8:9], v[8:9], s[12:13], v[38:39] op_sel:[0,0,1] op_sel_hi:[1,1,0] neg_lo:[0,0,1] neg_hi:[0,0,1]
	v_mov_b32_e32 v38, v46
	v_mov_b32_e32 v39, v1
	;; [unrolled: 1-line block ×3, first 2 shown]
	v_pk_fma_f32 v[38:39], v[4:5], s[8:9], v[38:39] op_sel_hi:[1,0,1]
	v_pk_fma_f32 v[0:1], v[4:5], s[8:9], v[0:1] op_sel_hi:[1,0,1]
	v_pk_add_f32 v[4:5], v[38:39], v[54:55]
	v_pk_add_f32 v[42:43], v[0:1], v[8:9] op_sel:[0,1] op_sel_hi:[1,0]
	ds_write2_b64 v126, v[4:5], v[42:43] offset0:2 offset1:3
	v_pk_mul_f32 v[42:43], v[66:67], s[2:3] op_sel_hi:[1,0]
	v_pk_add_f32 v[4:5], v[90:91], v[92:93]
	v_pk_add_f32 v[46:47], v[20:21], v[42:43] op_sel:[0,1] op_sel_hi:[1,0]
	v_pk_add_f32 v[20:21], v[20:21], v[42:43] op_sel:[0,1] op_sel_hi:[1,0] neg_lo:[0,1] neg_hi:[0,1]
	v_pk_add_f32 v[42:43], v[46:47], v[64:65] op_sel:[0,1] op_sel_hi:[1,0]
	v_pk_fma_f32 v[46:47], v[110:111], s[8:9], v[112:113] op_sel_hi:[1,0,1]
	v_pk_add_f32 v[20:21], v[20:21], v[64:65] op_sel:[0,1] op_sel_hi:[1,0] neg_lo:[0,1] neg_hi:[0,1]
	v_pk_mul_f32 v[46:47], v[46:47], s[6:7] op_sel_hi:[0,1]
	v_pk_fma_f32 v[50:51], v[98:99], s[10:11], v[46:47] op_sel:[1,0,0]
	v_pk_fma_f32 v[46:47], v[98:99], s[10:11], v[46:47] op_sel:[1,0,0] neg_lo:[0,0,1] neg_hi:[0,0,1]
	v_pk_add_f32 v[12:13], v[12:13], v[24:25] neg_lo:[0,1] neg_hi:[0,1]
	v_mov_b32_e32 v51, v47
	v_mov_b32_e32 v46, v42
	;; [unrolled: 1-line block ×4, first 2 shown]
	v_pk_fma_f32 v[46:47], v[4:5], s[8:9], v[46:47] op_sel_hi:[1,0,1]
	v_pk_fma_f32 v[4:5], v[4:5], s[8:9], v[20:21] op_sel_hi:[1,0,1]
	v_pk_fma_f32 v[20:21], v[94:95], s[14:15], v[118:119] op_sel:[0,0,1] op_sel_hi:[1,1,0] neg_lo:[0,0,1] neg_hi:[0,0,1]
	v_pk_add_f32 v[0:1], v[0:1], v[8:9] op_sel:[0,1] op_sel_hi:[1,0] neg_lo:[0,1] neg_hi:[0,1]
	v_pk_add_f32 v[24:25], v[4:5], v[20:21] op_sel:[1,0] op_sel_hi:[0,1]
	v_pk_add_f32 v[4:5], v[4:5], v[20:21] op_sel:[1,0] op_sel_hi:[0,1] neg_lo:[0,1] neg_hi:[0,1]
	v_mov_b32_e32 v42, v25
	v_mov_b32_e32 v43, v24
	;; [unrolled: 1-line block ×4, first 2 shown]
	ds_write2_b64 v126, v[42:43], v[12:13] offset0:4 offset1:5
	v_pk_add_f32 v[12:13], v[46:47], v[50:51] neg_lo:[0,1] neg_hi:[0,1]
	v_pk_add_f32 v[24:25], v[38:39], v[54:55] neg_lo:[0,1] neg_hi:[0,1]
	ds_write2_b64 v126, v[0:1], v[8:9] offset0:8 offset1:9
	v_pk_fma_f32 v[0:1], v[52:53], 0.5, v[36:37] op_sel_hi:[1,0,1] neg_lo:[1,0,0] neg_hi:[1,0,0]
	v_pk_mul_f32 v[8:9], v[58:59], s[2:3] op_sel_hi:[1,0]
	ds_write2_b64 v126, v[12:13], v[24:25] offset0:6 offset1:7
	v_pk_add_f32 v[12:13], v[0:1], v[8:9] op_sel:[0,1] op_sel_hi:[1,0]
	v_pk_add_f32 v[0:1], v[0:1], v[8:9] op_sel:[0,1] op_sel_hi:[1,0] neg_lo:[0,1] neg_hi:[0,1]
	v_pk_mul_f32 v[8:9], v[28:29], s[10:11] op_sel_hi:[1,0]
	v_pk_add_f32 v[24:25], v[30:31], v[22:23]
	v_pk_add_f32 v[0:1], v[0:1], v[8:9] op_sel:[0,1] op_sel_hi:[1,0] neg_lo:[0,1] neg_hi:[0,1]
	v_pk_add_f32 v[8:9], v[12:13], v[8:9] op_sel:[0,1] op_sel_hi:[1,0]
	v_pk_add_f32 v[4:5], v[48:49], v[44:45]
	v_pk_add_f32 v[12:13], v[18:19], v[34:35]
	v_pk_fma_f32 v[18:19], v[24:25], 0.5, v[18:19] op_sel_hi:[1,0,1] neg_lo:[1,0,0] neg_hi:[1,0,0]
	v_mov_b32_e32 v24, v8
	v_mov_b32_e32 v25, v1
	;; [unrolled: 1-line block ×3, first 2 shown]
	v_pk_add_f32 v[12:13], v[12:13], v[30:31]
	v_pk_fma_f32 v[24:25], v[4:5], s[8:9], v[24:25] op_sel_hi:[1,0,1]
	v_pk_fma_f32 v[0:1], v[4:5], s[8:9], v[0:1] op_sel_hi:[1,0,1]
	v_pk_mul_f32 v[4:5], v[16:17], s[2:3] op_sel_hi:[1,0]
	v_pk_add_f32 v[20:21], v[34:35], v[30:31] neg_lo:[0,1] neg_hi:[0,1]
	v_pk_add_f32 v[12:13], v[12:13], v[22:23]
	v_pk_add_f32 v[22:23], v[26:27], v[22:23] neg_lo:[0,1] neg_hi:[0,1]
	v_pk_add_f32 v[8:9], v[18:19], v[4:5] op_sel:[0,1] op_sel_hi:[1,0]
	v_pk_add_f32 v[4:5], v[18:19], v[4:5] op_sel:[0,1] op_sel_hi:[1,0] neg_lo:[0,1] neg_hi:[0,1]
	v_pk_add_f32 v[20:21], v[20:21], v[22:23]
	v_pk_add_f32 v[8:9], v[14:15], v[8:9] op_sel:[1,0] op_sel_hi:[0,1]
	v_pk_add_f32 v[4:5], v[4:5], v[14:15] op_sel:[0,1] op_sel_hi:[1,0] neg_lo:[0,1] neg_hi:[0,1]
	v_pk_fma_f32 v[16:17], v[20:21], s[8:9], v[8:9] op_sel_hi:[1,0,1]
	v_pk_fma_f32 v[14:15], v[20:21], s[8:9], v[4:5] op_sel_hi:[1,0,1]
	v_mov_b32_e32 v5, v9
	v_pk_fma_f32 v[4:5], v[20:21], s[8:9], v[4:5] op_sel_hi:[1,0,1]
	s_movk_i32 s3, 0xcd
	v_pk_mul_f32 v[8:9], v[4:5], s[6:7] op_sel_hi:[1,0]
	v_add_u16_e32 v67, 0x78, v62
	v_pk_fma_f32 v[4:5], v[4:5], s[14:15], v[8:9] op_sel:[0,0,1] op_sel_hi:[1,1,0] neg_lo:[0,0,1] neg_hi:[0,0,1]
	v_pk_mul_f32 v[8:9], v[16:17], s[6:7] op_sel_hi:[0,1]
	v_pk_fma_f32 v[16:17], v[14:15], s[10:11], v[8:9] op_sel:[1,0,0]
	v_pk_fma_f32 v[8:9], v[14:15], s[10:11], v[8:9] op_sel:[1,0,0] neg_lo:[0,0,1] neg_hi:[0,0,1]
	v_pk_add_f32 v[14:15], v[0:1], v[4:5] op_sel:[1,0] op_sel_hi:[0,1]
	v_pk_add_f32 v[0:1], v[0:1], v[4:5] op_sel:[1,0] op_sel_hi:[0,1] neg_lo:[0,1] neg_hi:[0,1]
	v_mov_b32_e32 v5, v0
	v_mul_lo_u16_sdwa v0, v62, s3 dst_sel:DWORD dst_unused:UNUSED_PAD src0_sel:BYTE_0 src1_sel:DWORD
	v_lshrrev_b16_e32 v72, 11, v0
	v_mul_lo_u16_sdwa v0, v67, s3 dst_sel:DWORD dst_unused:UNUSED_PAD src0_sel:BYTE_0 src1_sel:DWORD
	v_lshrrev_b16_e32 v70, 11, v0
	v_add_u32_e32 v66, 0xf0, v62
	v_pk_add_f32 v[12:13], v[12:13], v[26:27]
	v_mov_b32_e32 v17, v9
	v_mul_lo_u16_e32 v0, 10, v70
	s_mov_b32 s3, 0xcccd
	v_add_u32_e32 v34, 0x4b00, v126
	v_pk_add_f32 v[28:29], v[40:41], v[12:13]
	v_pk_add_f32 v[8:9], v[24:25], v[16:17]
	v_sub_u16_e32 v71, v67, v0
	v_mul_u32_u24_sdwa v0, v66, s3 dst_sel:DWORD dst_unused:UNUSED_PAD src0_sel:WORD_0 src1_sel:DWORD
	v_add_u32_e32 v30, 0x4b20, v126
	ds_write2_b64 v34, v[28:29], v[8:9] offset1:1
	v_pk_add_f32 v[8:9], v[40:41], v[12:13] neg_lo:[0,1] neg_hi:[0,1]
	v_mov_b32_e32 v12, v15
	v_mov_b32_e32 v13, v14
	v_lshrrev_b32_e32 v68, 19, v0
	ds_write2_b64 v30, v[12:13], v[8:9] offset1:1
	v_add_u32_e32 v12, 0x4b30, v126
	v_pk_add_f32 v[8:9], v[24:25], v[16:17] neg_lo:[0,1] neg_hi:[0,1]
	v_pk_add_f32 v[10:11], v[10:11], v[32:33] neg_lo:[0,1] neg_hi:[0,1]
	v_mul_lo_u16_e32 v0, 10, v68
	ds_write2_b64 v12, v[8:9], v[10:11] offset1:1
	v_add_u32_e32 v8, 0x4b40, v126
	v_pk_add_f32 v[2:3], v[2:3], v[6:7] op_sel:[0,1] op_sel_hi:[1,0] neg_lo:[0,1] neg_hi:[0,1]
	v_mov_b32_e32 v4, v1
	v_sub_u16_e32 v69, v66, v0
	ds_write2_b64 v8, v[2:3], v[4:5] offset1:1
	v_mov_b32_e32 v4, 9
	v_mul_u32_u24_e32 v0, 9, v69
	v_pk_add_f32 v[64:65], v[46:47], v[50:51]
	v_lshlrev_b32_e32 v36, 3, v0
	v_mul_u32_u24_sdwa v0, v71, v4 dst_sel:DWORD dst_unused:UNUSED_PAD src0_sel:BYTE_0 src1_sel:DWORD
	ds_write2_b64 v126, v[56:57], v[64:65] offset1:1
	s_waitcnt lgkmcnt(0)
	s_barrier
	global_load_dwordx2 v[10:11], v36, s[4:5] offset:64
	v_lshlrev_b32_e32 v37, 3, v0
	global_load_dwordx2 v[8:9], v37, s[4:5] offset:64
	v_mul_lo_u16_e32 v0, 10, v72
	v_sub_u16_e32 v73, v62, v0
	global_load_dwordx4 v[0:3], v36, s[4:5] offset:48
	v_mul_u32_u24_sdwa v4, v73, v4 dst_sel:DWORD dst_unused:UNUSED_PAD src0_sel:BYTE_0 src1_sel:DWORD
	v_lshlrev_b32_e32 v64, 3, v4
	global_load_dwordx2 v[6:7], v64, s[4:5] offset:64
	global_load_dwordx4 v[16:19], v37, s[4:5] offset:48
	global_load_dwordx4 v[24:27], v64, s[4:5] offset:48
	;; [unrolled: 1-line block ×7, first 2 shown]
	ds_read2_b64 v[12:15], v80 offset0:32 offset1:152
	ds_read2_b64 v[20:23], v86 offset0:48 offset1:168
	global_load_dwordx4 v[98:101], v37, s[4:5]
	global_load_dwordx4 v[102:105], v36, s[4:5]
	s_waitcnt vmcnt(12) lgkmcnt(1)
	v_pk_mul_f32 v[28:29], v[14:15], v[10:11] op_sel:[0,1]
	s_nop 0
	v_pk_fma_f32 v[4:5], v[14:15], v[10:11], v[28:29] op_sel:[0,0,1] op_sel_hi:[1,1,0] neg_lo:[0,0,1] neg_hi:[0,0,1]
	v_pk_fma_f32 v[14:15], v[14:15], v[10:11], v[28:29] op_sel:[0,0,1] op_sel_hi:[1,0,0]
	s_waitcnt vmcnt(11)
	v_pk_mul_f32 v[10:11], v[12:13], v[8:9] op_sel:[0,1]
	v_mul_u32_u24_e32 v5, 0x320, v72
	v_pk_fma_f32 v[28:29], v[12:13], v[8:9], v[10:11] op_sel:[0,0,1] op_sel_hi:[1,1,0] neg_lo:[0,0,1] neg_hi:[0,0,1]
	v_pk_fma_f32 v[48:49], v[12:13], v[8:9], v[10:11] op_sel:[0,0,1] op_sel_hi:[1,0,0]
	ds_read2_b64 v[10:13], v82 offset0:80 offset1:200
	s_waitcnt vmcnt(10)
	v_mov_b32_e32 v8, v3
	s_waitcnt lgkmcnt(1)
	v_pk_mul_f32 v[30:31], v[20:21], v[8:9] op_sel_hi:[1,0]
	s_waitcnt vmcnt(9)
	v_pk_mul_f32 v[8:9], v[22:23], v[6:7] op_sel:[0,1]
	s_waitcnt vmcnt(4)
	v_mov_b32_e32 v14, v55
	v_pk_fma_f32 v[74:75], v[22:23], v[6:7], v[8:9] op_sel:[0,0,1] op_sel_hi:[1,1,0] neg_lo:[0,0,1] neg_hi:[0,0,1]
	v_pk_fma_f32 v[106:107], v[22:23], v[6:7], v[8:9] op_sel:[0,0,1] op_sel_hi:[1,0,0]
	v_pk_fma_f32 v[8:9], v[20:21], v[2:3], v[30:31] op_sel:[0,0,1] op_sel_hi:[1,1,0] neg_lo:[0,0,1] neg_hi:[0,0,1]
	v_pk_fma_f32 v[20:21], v[20:21], v[2:3], v[30:31] op_sel:[0,0,1] op_sel_hi:[1,0,0]
	s_waitcnt lgkmcnt(0)
	v_pk_mul_f32 v[2:3], v[12:13], v[0:1] op_sel:[0,1]
	v_mov_b32_e32 v75, v107
	v_pk_fma_f32 v[6:7], v[12:13], v[0:1], v[2:3] op_sel:[0,0,1] op_sel_hi:[1,1,0] neg_lo:[0,0,1] neg_hi:[0,0,1]
	v_pk_fma_f32 v[22:23], v[12:13], v[0:1], v[2:3] op_sel:[0,0,1] op_sel_hi:[1,0,0]
	ds_read2_b64 v[0:3], v77 offset0:64 offset1:184
	v_pk_mul_f32 v[12:13], v[10:11], v[16:17] op_sel:[0,1]
	v_mov_b32_e32 v29, v49
	v_pk_fma_f32 v[38:39], v[10:11], v[16:17], v[12:13] op_sel:[0,0,1] op_sel_hi:[1,1,0] neg_lo:[0,0,1] neg_hi:[0,0,1]
	v_pk_fma_f32 v[56:57], v[10:11], v[16:17], v[12:13] op_sel:[0,0,1] op_sel_hi:[1,0,0]
	v_mov_b32_e32 v10, v19
	s_waitcnt lgkmcnt(0)
	v_pk_mul_f32 v[10:11], v[2:3], v[10:11] op_sel_hi:[1,0]
	v_mov_b32_e32 v39, v57
	v_pk_fma_f32 v[40:41], v[2:3], v[18:19], v[10:11] op_sel:[0,0,1] op_sel_hi:[1,1,0] neg_lo:[0,0,1] neg_hi:[0,0,1]
	v_pk_fma_f32 v[58:59], v[2:3], v[18:19], v[10:11] op_sel:[0,0,1] op_sel_hi:[1,0,0]
	ds_read2_b64 v[16:19], v89 offset0:96 offset1:216
	v_mov_b32_e32 v2, v27
	v_pk_mul_f32 v[2:3], v[0:1], v[2:3] op_sel_hi:[1,0]
	v_mov_b32_e32 v10, v35
	v_pk_fma_f32 v[108:109], v[0:1], v[26:27], v[2:3] op_sel:[0,0,1] op_sel_hi:[1,1,0] neg_lo:[0,0,1] neg_hi:[0,0,1]
	v_pk_fma_f32 v[110:111], v[0:1], v[26:27], v[2:3] op_sel:[0,0,1] op_sel_hi:[1,0,0]
	s_waitcnt lgkmcnt(0)
	v_pk_mul_f32 v[0:1], v[18:19], v[24:25] op_sel:[0,1]
	v_pk_mul_f32 v[12:13], v[16:17], v[10:11] op_sel_hi:[1,0]
	v_pk_fma_f32 v[112:113], v[18:19], v[24:25], v[0:1] op_sel:[0,0,1] op_sel_hi:[1,1,0] neg_lo:[0,0,1] neg_hi:[0,0,1]
	v_pk_fma_f32 v[114:115], v[18:19], v[24:25], v[0:1] op_sel:[0,0,1] op_sel_hi:[1,0,0]
	global_load_dwordx4 v[24:27], v64, s[4:5] offset:16
	ds_read2_b64 v[0:3], v85 offset0:128 offset1:248
	v_pk_fma_f32 v[10:11], v[16:17], v[34:35], v[12:13] op_sel:[0,0,1] op_sel_hi:[1,1,0] neg_lo:[0,0,1] neg_hi:[0,0,1]
	v_pk_fma_f32 v[30:31], v[16:17], v[34:35], v[12:13] op_sel:[0,0,1] op_sel_hi:[1,0,0]
	v_mov_b32_e32 v109, v111
	v_mov_b32_e32 v113, v115
	s_waitcnt lgkmcnt(0)
	v_pk_mul_f32 v[16:17], v[2:3], v[32:33] op_sel:[0,1]
	v_mov_b32_e32 v41, v59
	v_pk_fma_f32 v[12:13], v[2:3], v[32:33], v[16:17] op_sel:[0,0,1] op_sel_hi:[1,1,0] neg_lo:[0,0,1] neg_hi:[0,0,1]
	v_pk_fma_f32 v[32:33], v[2:3], v[32:33], v[16:17] op_sel:[0,0,1] op_sel_hi:[1,0,0]
	ds_read2_b64 v[16:19], v63 offset0:112 offset1:232
	v_pk_mul_f32 v[2:3], v[0:1], v[42:43] op_sel:[0,1]
	v_mov_b32_e32 v9, v21
	v_pk_fma_f32 v[46:47], v[0:1], v[42:43], v[2:3] op_sel:[0,0,1] op_sel_hi:[1,1,0] neg_lo:[0,0,1] neg_hi:[0,0,1]
	v_pk_fma_f32 v[116:117], v[0:1], v[42:43], v[2:3] op_sel:[0,0,1] op_sel_hi:[1,0,0]
	v_mov_b32_e32 v0, v45
	s_waitcnt lgkmcnt(0)
	v_pk_mul_f32 v[0:1], v[18:19], v[0:1] op_sel_hi:[1,0]
	v_mov_b32_e32 v47, v117
	v_pk_fma_f32 v[50:51], v[18:19], v[44:45], v[0:1] op_sel:[0,0,1] op_sel_hi:[1,1,0] neg_lo:[0,0,1] neg_hi:[0,0,1]
	v_pk_fma_f32 v[118:119], v[18:19], v[44:45], v[0:1] op_sel:[0,0,1] op_sel_hi:[1,0,0]
	ds_read2_b64 v[0:3], v84 offset0:16 offset1:136
	ds_read2_b64 v[42:45], v87 offset0:48 offset1:168
	v_pk_mul_f32 v[18:19], v[16:17], v[14:15] op_sel_hi:[1,0]
	s_waitcnt vmcnt(3)
	v_mov_b32_e32 v14, v97
	v_pk_fma_f32 v[120:121], v[16:17], v[54:55], v[18:19] op_sel:[0,0,1] op_sel_hi:[1,1,0] neg_lo:[0,0,1] neg_hi:[0,0,1]
	v_pk_fma_f32 v[122:123], v[16:17], v[54:55], v[18:19] op_sel:[0,0,1] op_sel_hi:[1,0,0]
	s_waitcnt lgkmcnt(1)
	v_pk_mul_f32 v[16:17], v[2:3], v[52:53] op_sel:[0,1]
	v_mov_b32_e32 v121, v123
	v_pk_fma_f32 v[124:125], v[2:3], v[52:53], v[16:17] op_sel:[0,0,1] op_sel_hi:[1,1,0] neg_lo:[0,0,1] neg_hi:[0,0,1]
	v_pk_fma_f32 v[126:127], v[2:3], v[52:53], v[16:17] op_sel:[0,0,1] op_sel_hi:[1,0,0]
	v_mov_b32_e32 v2, v93
	v_pk_mul_f32 v[2:3], v[0:1], v[2:3] op_sel_hi:[1,0]
	v_mov_b32_e32 v125, v127
	v_pk_fma_f32 v[18:19], v[0:1], v[92:93], v[2:3] op_sel:[0,0,1] op_sel_hi:[1,1,0] neg_lo:[0,0,1] neg_hi:[0,0,1]
	v_pk_fma_f32 v[34:35], v[0:1], v[92:93], v[2:3] op_sel:[0,0,1] op_sel_hi:[1,0,0]
	s_waitcnt lgkmcnt(0)
	v_pk_mul_f32 v[0:1], v[44:45], v[90:91] op_sel:[0,1]
	v_mov_b32_e32 v51, v119
	v_pk_fma_f32 v[16:17], v[44:45], v[90:91], v[0:1] op_sel:[0,0,1] op_sel_hi:[1,1,0] neg_lo:[0,0,1] neg_hi:[0,0,1]
	v_pk_fma_f32 v[36:37], v[44:45], v[90:91], v[0:1] op_sel:[0,0,1] op_sel_hi:[1,0,0]
	global_load_dwordx4 v[90:93], v64, s[4:5]
	ds_read2_b64 v[0:3], v78 offset0:32 offset1:152
	v_pk_mul_f32 v[44:45], v[42:43], v[94:95] op_sel:[0,1]
	v_pk_add_f32 v[48:49], v[40:41], v[50:51] neg_lo:[0,1] neg_hi:[0,1]
	v_pk_fma_f32 v[52:53], v[42:43], v[94:95], v[44:45] op_sel:[0,0,1] op_sel_hi:[1,1,0] neg_lo:[0,0,1] neg_hi:[0,0,1]
	v_pk_fma_f32 v[94:95], v[42:43], v[94:95], v[44:45] op_sel:[0,0,1] op_sel_hi:[1,0,0]
	s_waitcnt lgkmcnt(0)
	v_pk_mul_f32 v[42:43], v[2:3], v[14:15] op_sel_hi:[1,0]
	s_waitcnt vmcnt(3)
	v_mov_b32_e32 v14, v101
	v_pk_fma_f32 v[54:55], v[2:3], v[96:97], v[42:43] op_sel:[0,0,1] op_sel_hi:[1,1,0] neg_lo:[0,0,1] neg_hi:[0,0,1]
	v_pk_fma_f32 v[96:97], v[2:3], v[96:97], v[42:43] op_sel:[0,0,1] op_sel_hi:[1,0,0]
	v_mov_b32_e32 v53, v95
	v_mov_b32_e32 v55, v97
	v_pk_add_f32 v[94:95], v[52:53], v[28:29] neg_lo:[0,1] neg_hi:[0,1]
	v_mov_b32_e32 v19, v35
	v_pk_mul_f32 v[96:97], v[94:95], s[2:3] op_sel_hi:[1,0]
	v_mov_b32_e32 v11, v31
	v_mov_b32_e32 v13, v33
	v_pk_add_f32 v[32:33], v[8:9], v[10:11] neg_lo:[0,1] neg_hi:[0,1]
	v_mov_b32_e32 v17, v37
	s_waitcnt vmcnt(1)
	v_mov_b32_e32 v2, v27
	v_pk_mul_f32 v[2:3], v[0:1], v[2:3] op_sel_hi:[1,0]
	s_nop 0
	v_pk_fma_f32 v[128:129], v[0:1], v[26:27], v[2:3] op_sel:[0,0,1] op_sel_hi:[1,1,0] neg_lo:[0,0,1] neg_hi:[0,0,1]
	v_pk_fma_f32 v[130:131], v[0:1], v[26:27], v[2:3] op_sel:[0,0,1] op_sel_hi:[1,0,0]
	ds_read2_b64 v[0:3], v83 offset0:64 offset1:184
	v_mov_b32_e32 v129, v131
	v_pk_add_f32 v[106:107], v[128:129], v[120:121]
	v_pk_add_f32 v[130:131], v[74:75], v[112:113] neg_lo:[0,1] neg_hi:[0,1]
	s_waitcnt lgkmcnt(0)
	v_pk_mul_f32 v[26:27], v[2:3], v[24:25] op_sel:[0,1]
	s_nop 0
	v_pk_fma_f32 v[132:133], v[2:3], v[24:25], v[26:27] op_sel:[0,0,1] op_sel_hi:[1,1,0] neg_lo:[0,0,1] neg_hi:[0,0,1]
	v_pk_fma_f32 v[134:135], v[2:3], v[24:25], v[26:27] op_sel:[0,0,1] op_sel_hi:[1,0,0]
	v_mov_b32_e32 v2, v105
	v_pk_mul_f32 v[2:3], v[0:1], v[2:3] op_sel_hi:[1,0]
	v_mov_b32_e32 v133, v135
	v_pk_fma_f32 v[24:25], v[0:1], v[104:105], v[2:3] op_sel:[0,0,1] op_sel_hi:[1,1,0] neg_lo:[0,0,1] neg_hi:[0,0,1]
	v_pk_fma_f32 v[42:43], v[0:1], v[104:105], v[2:3] op_sel:[0,0,1] op_sel_hi:[1,0,0]
	ds_read2_b64 v[0:3], v81 offset0:96 offset1:216
	v_pk_add_f32 v[134:135], v[132:133], v[74:75] neg_lo:[0,1] neg_hi:[0,1]
	v_mov_b32_e32 v42, 3
	v_lshlrev_b32_sdwa v7, v42, v73 dst_sel:DWORD dst_unused:UNUSED_PAD src0_sel:DWORD src1_sel:BYTE_0
	v_add3_u32 v5, 0, v5, v7
	s_waitcnt lgkmcnt(0)
	v_pk_mul_f32 v[44:45], v[2:3], v[102:103] op_sel:[0,1]
	v_lshlrev_b32_sdwa v7, v42, v71 dst_sel:DWORD dst_unused:UNUSED_PAD src0_sel:DWORD src1_sel:BYTE_0
	v_pk_fma_f32 v[26:27], v[2:3], v[102:103], v[44:45] op_sel:[0,0,1] op_sel_hi:[1,1,0] neg_lo:[0,0,1] neg_hi:[0,0,1]
	v_pk_fma_f32 v[44:45], v[2:3], v[102:103], v[44:45] op_sel:[0,0,1] op_sel_hi:[1,0,0]
	v_pk_mul_f32 v[2:3], v[0:1], v[98:99] op_sel:[0,1]
	v_mov_b32_e32 v25, v43
	v_pk_fma_f32 v[64:65], v[0:1], v[98:99], v[2:3] op_sel:[0,0,1] op_sel_hi:[1,1,0] neg_lo:[0,0,1] neg_hi:[0,0,1]
	v_pk_fma_f32 v[98:99], v[0:1], v[98:99], v[2:3] op_sel:[0,0,1] op_sel_hi:[1,0,0]
	ds_read2_b64 v[0:3], v79 offset0:80 offset1:200
	v_mov_b32_e32 v65, v99
	v_pk_add_f32 v[30:31], v[24:25], v[18:19] neg_lo:[0,1] neg_hi:[0,1]
	v_mov_b32_e32 v27, v45
	v_pk_add_f32 v[30:31], v[30:31], v[32:33]
	s_waitcnt lgkmcnt(0)
	v_pk_mul_f32 v[102:103], v[2:3], v[14:15] op_sel_hi:[1,0]
	s_nop 0
	v_pk_fma_f32 v[104:105], v[2:3], v[100:101], v[102:103] op_sel:[0,0,1] op_sel_hi:[1,1,0] neg_lo:[0,0,1] neg_hi:[0,0,1]
	v_pk_fma_f32 v[100:101], v[2:3], v[100:101], v[102:103] op_sel:[0,0,1] op_sel_hi:[1,0,0]
	s_waitcnt vmcnt(0)
	v_mov_b32_e32 v2, v93
	v_pk_mul_f32 v[2:3], v[0:1], v[2:3] op_sel_hi:[1,0]
	v_mov_b32_e32 v105, v101
	v_pk_fma_f32 v[102:103], v[0:1], v[92:93], v[2:3] op_sel:[0,0,1] op_sel_hi:[1,1,0] neg_lo:[0,0,1] neg_hi:[0,0,1]
	v_pk_fma_f32 v[92:93], v[0:1], v[92:93], v[2:3] op_sel:[0,0,1] op_sel_hi:[1,0,0]
	ds_read2_b64 v[0:3], v88 offset0:112 offset1:232
	v_mov_b32_e32 v103, v93
	v_pk_add_f32 v[110:111], v[102:103], v[108:109] neg_lo:[0,1] neg_hi:[0,1]
	v_pk_add_f32 v[56:57], v[104:105], v[40:41] neg_lo:[0,1] neg_hi:[0,1]
	v_pk_mul_f32 v[114:115], v[110:111], s[2:3] op_sel_hi:[1,0]
	s_waitcnt lgkmcnt(0)
	v_pk_mul_f32 v[136:137], v[90:91], v[2:3] op_sel:[0,1]
	v_pk_mul_f32 v[58:59], v[56:57], s[2:3] op_sel_hi:[1,0]
	v_pk_fma_f32 v[138:139], v[90:91], v[2:3], v[136:137] op_sel:[0,0,1] op_sel_hi:[1,1,0] neg_lo:[0,0,1] neg_hi:[0,0,1]
	v_pk_fma_f32 v[2:3], v[90:91], v[2:3], v[136:137] op_sel:[0,0,1] op_sel_hi:[1,0,0]
	v_pk_add_f32 v[90:91], v[108:109], v[120:121] neg_lo:[0,1] neg_hi:[0,1]
	v_mov_b32_e32 v139, v3
	v_pk_add_f32 v[2:3], v[102:103], v[128:129] neg_lo:[0,1] neg_hi:[0,1]
	v_pk_mul_f32 v[136:137], v[134:135], s[2:3] op_sel_hi:[1,0]
	v_pk_add_f32 v[2:3], v[2:3], v[90:91]
	ds_read2_b64 v[90:93], v76 offset1:120
	s_waitcnt lgkmcnt(0)
	s_barrier
	v_pk_fma_f32 v[106:107], v[106:107], 0.5, v[90:91] op_sel_hi:[1,0,1] neg_lo:[1,0,0] neg_hi:[1,0,0]
	s_nop 0
	v_pk_add_f32 v[122:123], v[106:107], v[114:115] op_sel:[0,1] op_sel_hi:[1,0]
	v_pk_add_f32 v[106:107], v[106:107], v[114:115] op_sel:[0,1] op_sel_hi:[1,0] neg_lo:[0,1] neg_hi:[0,1]
	v_pk_add_f32 v[114:115], v[128:129], v[120:121] neg_lo:[0,1] neg_hi:[0,1]
	v_pk_add_f32 v[72:73], v[90:91], v[102:103]
	v_pk_mul_f32 v[126:127], v[114:115], s[10:11] op_sel_hi:[1,0]
	v_pk_add_f32 v[72:73], v[72:73], v[128:129]
	v_pk_add_f32 v[106:107], v[106:107], v[126:127] op_sel:[0,1] op_sel_hi:[1,0] neg_lo:[0,1] neg_hi:[0,1]
	v_pk_add_f32 v[122:123], v[122:123], v[126:127] op_sel:[0,1] op_sel_hi:[1,0]
	v_pk_add_f32 v[126:127], v[132:133], v[124:125] neg_lo:[0,1] neg_hi:[0,1]
	v_pk_add_f32 v[72:73], v[72:73], v[120:121]
	v_pk_add_f32 v[126:127], v[126:127], v[130:131]
	;; [unrolled: 1-line block ×3, first 2 shown]
	v_pk_add_f32 v[128:129], v[128:129], v[102:103] neg_lo:[0,1] neg_hi:[0,1]
	v_pk_fma_f32 v[130:131], v[130:131], 0.5, v[138:139] op_sel_hi:[1,0,1] neg_lo:[1,0,0] neg_hi:[1,0,0]
	v_pk_add_f32 v[102:103], v[102:103], v[108:109]
	v_pk_add_f32 v[140:141], v[130:131], v[136:137] op_sel:[0,1] op_sel_hi:[1,0]
	v_pk_add_f32 v[130:131], v[130:131], v[136:137] op_sel:[0,1] op_sel_hi:[1,0] neg_lo:[0,1] neg_hi:[0,1]
	v_pk_add_f32 v[136:137], v[124:125], v[112:113] neg_lo:[0,1] neg_hi:[0,1]
	v_pk_add_f32 v[72:73], v[72:73], v[108:109]
	v_pk_mul_f32 v[142:143], v[136:137], s[10:11] op_sel_hi:[1,0]
	v_pk_add_f32 v[108:109], v[120:121], v[108:109] neg_lo:[0,1] neg_hi:[0,1]
	v_pk_add_f32 v[130:131], v[130:131], v[142:143] op_sel:[0,1] op_sel_hi:[1,0] neg_lo:[0,1] neg_hi:[0,1]
	v_pk_add_f32 v[140:141], v[140:141], v[142:143] op_sel:[0,1] op_sel_hi:[1,0]
	v_mov_b32_e32 v143, v131
	v_mov_b32_e32 v142, v140
	v_pk_fma_f32 v[142:143], v[126:127], s[8:9], v[142:143] op_sel_hi:[1,0,1]
	v_pk_add_f32 v[120:121], v[132:133], v[74:75]
	v_pk_mul_f32 v[144:145], v[142:143], s[10:11] op_sel_hi:[1,0]
	v_pk_fma_f32 v[90:91], v[102:103], 0.5, v[90:91] op_sel_hi:[1,0,1] neg_lo:[1,0,0] neg_hi:[1,0,0]
	v_pk_fma_f32 v[146:147], v[142:143], s[6:7], v[144:145] op_sel:[0,0,1] op_sel_hi:[1,0,0]
	v_pk_fma_f32 v[142:143], v[142:143], s[6:7], v[144:145] op_sel:[0,0,1] op_sel_hi:[1,0,0] neg_lo:[0,0,1] neg_hi:[0,0,1]
	v_pk_mul_f32 v[102:103], v[114:115], s[2:3] op_sel_hi:[1,0]
	v_mov_b32_e32 v147, v143
	v_pk_add_f32 v[142:143], v[138:139], v[132:133]
	v_pk_fma_f32 v[120:121], v[120:121], 0.5, v[138:139] op_sel_hi:[1,0,1] neg_lo:[1,0,0] neg_hi:[1,0,0]
	v_pk_add_f32 v[142:143], v[142:143], v[124:125]
	v_pk_mul_f32 v[114:115], v[134:135], s[10:11] op_sel_hi:[1,0]
	v_pk_add_f32 v[142:143], v[142:143], v[112:113]
	v_pk_add_f32 v[124:125], v[124:125], v[132:133] neg_lo:[0,1] neg_hi:[0,1]
	v_pk_add_f32 v[142:143], v[142:143], v[74:75]
	v_pk_add_f32 v[74:75], v[112:113], v[74:75] neg_lo:[0,1] neg_hi:[0,1]
	v_pk_add_f32 v[112:113], v[90:91], v[102:103] op_sel:[0,1] op_sel_hi:[1,0] neg_lo:[0,1] neg_hi:[0,1]
	v_pk_add_f32 v[90:91], v[90:91], v[102:103] op_sel:[0,1] op_sel_hi:[1,0]
	v_pk_mul_f32 v[102:103], v[110:111], s[10:11] op_sel_hi:[1,0]
	v_pk_mul_f32 v[110:111], v[136:137], s[2:3] op_sel_hi:[1,0]
	v_pk_add_f32 v[90:91], v[90:91], v[102:103] op_sel:[0,1] op_sel_hi:[1,0] neg_lo:[0,1] neg_hi:[0,1]
	v_pk_add_f32 v[102:103], v[112:113], v[102:103] op_sel:[0,1] op_sel_hi:[1,0]
	v_pk_add_f32 v[112:113], v[120:121], v[110:111] op_sel:[0,1] op_sel_hi:[1,0] neg_lo:[0,1] neg_hi:[0,1]
	v_pk_add_f32 v[110:111], v[120:121], v[110:111] op_sel:[0,1] op_sel_hi:[1,0]
	v_pk_add_f32 v[112:113], v[112:113], v[114:115] op_sel:[0,1] op_sel_hi:[1,0]
	v_pk_add_f32 v[110:111], v[110:111], v[114:115] op_sel:[0,1] op_sel_hi:[1,0] neg_lo:[0,1] neg_hi:[0,1]
	v_pk_add_f32 v[74:75], v[124:125], v[74:75]
	v_mov_b32_e32 v114, v112
	v_mov_b32_e32 v115, v111
	v_pk_fma_f32 v[114:115], v[74:75], s[8:9], v[114:115] op_sel_hi:[1,0,1]
	v_mov_b32_e32 v111, v113
	v_pk_mul_f32 v[120:121], v[114:115], s[2:3] op_sel_hi:[1,0]
	v_pk_add_f32 v[108:109], v[128:129], v[108:109]
	v_pk_fma_f32 v[124:125], v[114:115], s[8:9], v[120:121] op_sel:[0,0,1] op_sel_hi:[1,0,0]
	v_pk_fma_f32 v[114:115], v[114:115], s[8:9], v[120:121] op_sel:[0,0,1] op_sel_hi:[1,0,0] neg_lo:[0,0,1] neg_hi:[0,0,1]
	v_pk_fma_f32 v[74:75], v[74:75], s[8:9], v[110:111] op_sel_hi:[1,0,1]
	v_mov_b32_e32 v125, v115
	v_mov_b32_e32 v114, v102
	v_mov_b32_e32 v115, v91
	v_mov_b32_e32 v91, v103
	v_pk_fma_f32 v[102:103], v[108:109], s[8:9], v[114:115] op_sel_hi:[1,0,1]
	v_pk_fma_f32 v[90:91], v[108:109], s[8:9], v[90:91] op_sel_hi:[1,0,1]
	v_pk_mul_f32 v[108:109], v[74:75], s[8:9] op_sel_hi:[1,0]
	v_mov_b32_e32 v144, v122
	v_mov_b32_e32 v145, v107
	v_pk_fma_f32 v[74:75], v[74:75], s[12:13], v[108:109] op_sel:[0,0,1] op_sel_hi:[1,1,0] neg_lo:[0,0,1] neg_hi:[0,0,1]
	v_mov_b32_e32 v107, v123
	v_mov_b32_e32 v131, v141
	v_pk_fma_f32 v[144:145], v[2:3], s[8:9], v[144:145] op_sel_hi:[1,0,1]
	v_pk_add_f32 v[108:109], v[102:103], v[124:125]
	v_pk_add_f32 v[110:111], v[90:91], v[74:75] op_sel:[0,1] op_sel_hi:[1,0]
	v_pk_fma_f32 v[2:3], v[2:3], s[8:9], v[106:107] op_sel_hi:[1,0,1]
	v_pk_fma_f32 v[106:107], v[126:127], s[8:9], v[130:131] op_sel_hi:[1,0,1]
	ds_write2_b64 v5, v[108:109], v[110:111] offset0:20 offset1:30
	v_pk_mul_f32 v[108:109], v[106:107], s[6:7] op_sel_hi:[1,0]
	v_pk_add_f32 v[148:149], v[72:73], v[142:143]
	v_pk_fma_f32 v[106:107], v[106:107], s[14:15], v[108:109] op_sel:[0,0,1] op_sel_hi:[1,1,0] neg_lo:[0,0,1] neg_hi:[0,0,1]
	v_pk_add_f32 v[72:73], v[72:73], v[142:143] neg_lo:[0,1] neg_hi:[0,1]
	v_pk_add_f32 v[108:109], v[2:3], v[106:107] op_sel:[0,1] op_sel_hi:[1,0]
	ds_write2_b64 v5, v[108:109], v[72:73] offset0:40 offset1:50
	v_pk_add_f32 v[72:73], v[144:145], v[146:147] neg_lo:[0,1] neg_hi:[0,1]
	v_pk_add_f32 v[102:103], v[102:103], v[124:125] neg_lo:[0,1] neg_hi:[0,1]
	ds_write2_b64 v5, v[72:73], v[102:103] offset0:60 offset1:70
	v_pk_add_f32 v[72:73], v[90:91], v[74:75] op_sel:[0,1] op_sel_hi:[1,0] neg_lo:[0,1] neg_hi:[0,1]
	v_pk_add_f32 v[2:3], v[2:3], v[106:107] op_sel:[0,1] op_sel_hi:[1,0] neg_lo:[0,1] neg_hi:[0,1]
	ds_write2_b64 v5, v[72:73], v[2:3] offset0:80 offset1:90
	v_pk_add_f32 v[2:3], v[104:105], v[54:55] neg_lo:[0,1] neg_hi:[0,1]
	v_pk_add_f32 v[90:91], v[28:29], v[38:39] neg_lo:[0,1] neg_hi:[0,1]
	v_pk_add_f32 v[2:3], v[2:3], v[48:49]
	v_pk_add_f32 v[48:49], v[54:55], v[50:51]
	;; [unrolled: 1-line block ×3, first 2 shown]
	v_pk_fma_f32 v[48:49], v[48:49], 0.5, v[92:93] op_sel_hi:[1,0,1] neg_lo:[1,0,0] neg_hi:[1,0,0]
	ds_write2_b64 v5, v[148:149], v[150:151] offset1:10
	v_pk_add_f32 v[72:73], v[48:49], v[58:59] op_sel:[0,1] op_sel_hi:[1,0]
	v_pk_add_f32 v[48:49], v[48:49], v[58:59] op_sel:[0,1] op_sel_hi:[1,0] neg_lo:[0,1] neg_hi:[0,1]
	v_pk_add_f32 v[58:59], v[54:55], v[50:51] neg_lo:[0,1] neg_hi:[0,1]
	v_mul_u32_u24_e32 v5, 0x320, v70
	v_pk_mul_f32 v[74:75], v[58:59], s[10:11] op_sel_hi:[1,0]
	v_pk_add_f32 v[70:71], v[92:93], v[104:105]
	v_pk_add_f32 v[48:49], v[48:49], v[74:75] op_sel:[0,1] op_sel_hi:[1,0] neg_lo:[0,1] neg_hi:[0,1]
	v_pk_add_f32 v[72:73], v[72:73], v[74:75] op_sel:[0,1] op_sel_hi:[1,0]
	v_pk_add_f32 v[74:75], v[52:53], v[46:47] neg_lo:[0,1] neg_hi:[0,1]
	v_pk_add_f32 v[70:71], v[70:71], v[54:55]
	v_pk_add_f32 v[74:75], v[74:75], v[90:91]
	;; [unrolled: 1-line block ×4, first 2 shown]
	v_pk_fma_f32 v[90:91], v[90:91], 0.5, v[64:65] op_sel_hi:[1,0,1] neg_lo:[1,0,0] neg_hi:[1,0,0]
	v_pk_add_f32 v[70:71], v[70:71], v[40:41]
	v_pk_add_f32 v[98:99], v[90:91], v[96:97] op_sel:[0,1] op_sel_hi:[1,0]
	v_pk_add_f32 v[90:91], v[90:91], v[96:97] op_sel:[0,1] op_sel_hi:[1,0] neg_lo:[0,1] neg_hi:[0,1]
	v_pk_add_f32 v[96:97], v[46:47], v[38:39] neg_lo:[0,1] neg_hi:[0,1]
	v_add3_u32 v22, 0, v5, v7
	v_pk_mul_f32 v[100:101], v[96:97], s[10:11] op_sel_hi:[1,0]
	v_pk_add_f32 v[54:55], v[54:55], v[104:105] neg_lo:[0,1] neg_hi:[0,1]
	v_pk_add_f32 v[90:91], v[90:91], v[100:101] op_sel:[0,1] op_sel_hi:[1,0] neg_lo:[0,1] neg_hi:[0,1]
	v_pk_add_f32 v[98:99], v[98:99], v[100:101] op_sel:[0,1] op_sel_hi:[1,0]
	v_mov_b32_e32 v101, v91
	v_mov_b32_e32 v100, v98
	v_pk_fma_f32 v[100:101], v[74:75], s[8:9], v[100:101] op_sel_hi:[1,0,1]
	v_mov_b32_e32 v91, v99
	v_pk_mul_f32 v[102:103], v[100:101], s[10:11] op_sel_hi:[1,0]
	v_mov_b32_e32 v5, v15
	v_pk_fma_f32 v[106:107], v[100:101], s[6:7], v[102:103] op_sel:[0,0,1] op_sel_hi:[1,0,0]
	v_pk_fma_f32 v[100:101], v[100:101], s[6:7], v[102:103] op_sel:[0,0,1] op_sel_hi:[1,0,0] neg_lo:[0,0,1] neg_hi:[0,0,1]
	v_mov_b32_e32 v102, v72
	v_mov_b32_e32 v107, v101
	v_pk_add_f32 v[100:101], v[64:65], v[52:53]
	v_mov_b32_e32 v103, v49
	v_pk_add_f32 v[100:101], v[100:101], v[46:47]
	v_pk_fma_f32 v[102:103], v[2:3], s[8:9], v[102:103] op_sel_hi:[1,0,1]
	v_pk_add_f32 v[100:101], v[100:101], v[38:39]
	v_pk_add_f32 v[110:111], v[102:103], v[106:107]
	v_pk_add_f32 v[100:101], v[100:101], v[28:29]
	v_pk_add_f32 v[46:47], v[46:47], v[52:53] neg_lo:[0,1] neg_hi:[0,1]
	v_pk_add_f32 v[108:109], v[70:71], v[100:101]
	ds_write2_b64 v22, v[108:109], v[110:111] offset1:10
	v_pk_add_f32 v[108:109], v[104:105], v[40:41]
	v_pk_add_f32 v[40:41], v[50:51], v[40:41] neg_lo:[0,1] neg_hi:[0,1]
	v_pk_fma_f32 v[92:93], v[108:109], 0.5, v[92:93] op_sel_hi:[1,0,1] neg_lo:[1,0,0] neg_hi:[1,0,0]
	v_pk_add_f32 v[50:51], v[52:53], v[28:29]
	v_pk_add_f32 v[28:29], v[38:39], v[28:29] neg_lo:[0,1] neg_hi:[0,1]
	v_pk_mul_f32 v[38:39], v[58:59], s[2:3] op_sel_hi:[1,0]
	v_pk_add_f32 v[28:29], v[46:47], v[28:29]
	v_pk_add_f32 v[46:47], v[92:93], v[38:39] op_sel:[0,1] op_sel_hi:[1,0] neg_lo:[0,1] neg_hi:[0,1]
	v_pk_add_f32 v[38:39], v[92:93], v[38:39] op_sel:[0,1] op_sel_hi:[1,0]
	v_pk_mul_f32 v[52:53], v[56:57], s[10:11] op_sel_hi:[1,0]
	v_pk_fma_f32 v[50:51], v[50:51], 0.5, v[64:65] op_sel_hi:[1,0,1] neg_lo:[1,0,0] neg_hi:[1,0,0]
	v_pk_add_f32 v[38:39], v[38:39], v[52:53] op_sel:[0,1] op_sel_hi:[1,0] neg_lo:[0,1] neg_hi:[0,1]
	v_pk_add_f32 v[46:47], v[46:47], v[52:53] op_sel:[0,1] op_sel_hi:[1,0]
	v_pk_mul_f32 v[52:53], v[96:97], s[2:3] op_sel_hi:[1,0]
	v_pk_add_f32 v[40:41], v[54:55], v[40:41]
	v_pk_add_f32 v[54:55], v[50:51], v[52:53] op_sel:[0,1] op_sel_hi:[1,0] neg_lo:[0,1] neg_hi:[0,1]
	v_pk_add_f32 v[50:51], v[50:51], v[52:53] op_sel:[0,1] op_sel_hi:[1,0]
	v_pk_mul_f32 v[52:53], v[94:95], s[10:11] op_sel_hi:[1,0]
	v_mov_b32_e32 v49, v73
	v_pk_add_f32 v[50:51], v[50:51], v[52:53] op_sel:[0,1] op_sel_hi:[1,0] neg_lo:[0,1] neg_hi:[0,1]
	v_pk_add_f32 v[52:53], v[54:55], v[52:53] op_sel:[0,1] op_sel_hi:[1,0]
	v_mov_b32_e32 v55, v51
	v_mov_b32_e32 v54, v52
	v_pk_fma_f32 v[54:55], v[28:29], s[8:9], v[54:55] op_sel_hi:[1,0,1]
	v_mov_b32_e32 v51, v53
	v_pk_mul_f32 v[56:57], v[54:55], s[2:3] op_sel_hi:[1,0]
	v_pk_fma_f32 v[28:29], v[28:29], s[8:9], v[50:51] op_sel_hi:[1,0,1]
	v_pk_fma_f32 v[58:59], v[54:55], s[8:9], v[56:57] op_sel:[0,0,1] op_sel_hi:[1,0,0]
	v_pk_fma_f32 v[54:55], v[54:55], s[8:9], v[56:57] op_sel:[0,0,1] op_sel_hi:[1,0,0] neg_lo:[0,0,1] neg_hi:[0,0,1]
	v_pk_fma_f32 v[2:3], v[2:3], s[8:9], v[48:49] op_sel_hi:[1,0,1]
	v_mov_b32_e32 v59, v55
	v_mov_b32_e32 v54, v46
	v_mov_b32_e32 v55, v39
	v_mov_b32_e32 v39, v47
	v_pk_fma_f32 v[46:47], v[40:41], s[8:9], v[54:55] op_sel_hi:[1,0,1]
	v_pk_fma_f32 v[38:39], v[40:41], s[8:9], v[38:39] op_sel_hi:[1,0,1]
	v_pk_mul_f32 v[40:41], v[28:29], s[8:9] op_sel_hi:[1,0]
	v_pk_add_f32 v[14:15], v[102:103], v[106:107] neg_lo:[0,1] neg_hi:[0,1]
	v_pk_fma_f32 v[28:29], v[28:29], s[12:13], v[40:41] op_sel:[0,0,1] op_sel_hi:[1,1,0] neg_lo:[0,0,1] neg_hi:[0,0,1]
	v_pk_add_f32 v[40:41], v[46:47], v[58:59]
	v_pk_add_f32 v[50:51], v[38:39], v[28:29] op_sel:[0,1] op_sel_hi:[1,0]
	ds_write2_b64 v22, v[40:41], v[50:51] offset0:20 offset1:30
	v_pk_fma_f32 v[40:41], v[74:75], s[8:9], v[90:91] op_sel_hi:[1,0,1]
	v_pk_add_f32 v[20:21], v[46:47], v[58:59] neg_lo:[0,1] neg_hi:[0,1]
	v_pk_mul_f32 v[48:49], v[40:41], s[6:7] op_sel_hi:[1,0]
	ds_write2_b64 v22, v[14:15], v[20:21] offset0:60 offset1:70
	v_pk_fma_f32 v[40:41], v[40:41], s[14:15], v[48:49] op_sel:[0,0,1] op_sel_hi:[1,1,0] neg_lo:[0,0,1] neg_hi:[0,0,1]
	v_pk_add_f32 v[14:15], v[38:39], v[28:29] op_sel:[0,1] op_sel_hi:[1,0] neg_lo:[0,1] neg_hi:[0,1]
	v_pk_add_f32 v[50:51], v[2:3], v[40:41] op_sel:[0,1] op_sel_hi:[1,0]
	v_pk_add_f32 v[2:3], v[2:3], v[40:41] op_sel:[0,1] op_sel_hi:[1,0] neg_lo:[0,1] neg_hi:[0,1]
	v_pk_add_f32 v[48:49], v[70:71], v[100:101] neg_lo:[0,1] neg_hi:[0,1]
	ds_write2_b64 v22, v[14:15], v[2:3] offset0:80 offset1:90
	v_pk_add_f32 v[2:3], v[18:19], v[10:11]
	v_pk_add_f32 v[14:15], v[24:25], v[8:9] neg_lo:[0,1] neg_hi:[0,1]
	ds_write2_b64 v22, v[50:51], v[48:49] offset0:40 offset1:50
	v_mov_b32_e32 v7, v23
	v_pk_fma_f32 v[2:3], v[2:3], 0.5, v[0:1] op_sel_hi:[1,0,1] neg_lo:[1,0,0] neg_hi:[1,0,0]
	v_pk_mul_f32 v[20:21], v[14:15], s[2:3] op_sel_hi:[1,0]
	v_pk_add_f32 v[22:23], v[18:19], v[10:11] neg_lo:[0,1] neg_hi:[0,1]
	v_pk_add_f32 v[32:33], v[2:3], v[20:21] op_sel:[0,1] op_sel_hi:[1,0]
	v_pk_mul_f32 v[28:29], v[22:23], s[10:11] op_sel_hi:[1,0]
	v_pk_add_f32 v[2:3], v[2:3], v[20:21] op_sel:[0,1] op_sel_hi:[1,0] neg_lo:[0,1] neg_hi:[0,1]
	v_pk_add_f32 v[20:21], v[32:33], v[28:29] op_sel:[0,1] op_sel_hi:[1,0]
	v_pk_add_f32 v[32:33], v[16:17], v[12:13] neg_lo:[0,1] neg_hi:[0,1]
	v_pk_add_f32 v[34:35], v[4:5], v[6:7] neg_lo:[0,1] neg_hi:[0,1]
	v_pk_add_f32 v[2:3], v[2:3], v[28:29] op_sel:[0,1] op_sel_hi:[1,0] neg_lo:[0,1] neg_hi:[0,1]
	v_pk_add_f32 v[28:29], v[12:13], v[6:7]
	v_pk_add_f32 v[32:33], v[32:33], v[34:35]
	v_pk_add_f32 v[34:35], v[16:17], v[4:5] neg_lo:[0,1] neg_hi:[0,1]
	v_pk_fma_f32 v[28:29], v[28:29], 0.5, v[26:27] op_sel_hi:[1,0,1] neg_lo:[1,0,0] neg_hi:[1,0,0]
	v_pk_mul_f32 v[36:37], v[34:35], s[2:3] op_sel_hi:[1,0]
	v_mov_b32_e32 v48, v20
	v_pk_add_f32 v[38:39], v[28:29], v[36:37] op_sel:[0,1] op_sel_hi:[1,0]
	v_pk_add_f32 v[28:29], v[28:29], v[36:37] op_sel:[0,1] op_sel_hi:[1,0] neg_lo:[0,1] neg_hi:[0,1]
	v_pk_add_f32 v[36:37], v[12:13], v[6:7] neg_lo:[0,1] neg_hi:[0,1]
	v_mov_b32_e32 v49, v3
	v_pk_mul_f32 v[40:41], v[36:37], s[10:11] op_sel_hi:[1,0]
	v_pk_fma_f32 v[48:49], v[30:31], s[8:9], v[48:49] op_sel_hi:[1,0,1]
	v_pk_add_f32 v[28:29], v[28:29], v[40:41] op_sel:[0,1] op_sel_hi:[1,0] neg_lo:[0,1] neg_hi:[0,1]
	v_pk_add_f32 v[38:39], v[38:39], v[40:41] op_sel:[0,1] op_sel_hi:[1,0]
	v_mov_b32_e32 v41, v29
	v_mov_b32_e32 v40, v38
	v_pk_fma_f32 v[40:41], v[32:33], s[8:9], v[40:41] op_sel_hi:[1,0,1]
	v_mul_u32_u24_e32 v29, 0x320, v68
	v_pk_mul_f32 v[44:45], v[40:41], s[10:11] op_sel_hi:[1,0]
	v_lshlrev_b32_e32 v38, 3, v69
	v_pk_fma_f32 v[46:47], v[40:41], s[6:7], v[44:45] op_sel:[0,0,1] op_sel_hi:[1,0,0]
	v_pk_fma_f32 v[40:41], v[40:41], s[6:7], v[44:45] op_sel:[0,0,1] op_sel_hi:[1,0,0] neg_lo:[0,0,1] neg_hi:[0,0,1]
	v_pk_add_f32 v[44:45], v[26:27], v[16:17]
	v_mov_b32_e32 v47, v41
	v_pk_add_f32 v[40:41], v[0:1], v[24:25]
	v_pk_add_f32 v[44:45], v[44:45], v[12:13]
	;; [unrolled: 1-line block ×7, first 2 shown]
	v_add3_u32 v38, 0, v29, v38
	v_pk_add_f32 v[50:51], v[40:41], v[44:45]
	v_pk_add_f32 v[52:53], v[48:49], v[46:47]
	ds_write2_b64 v38, v[50:51], v[52:53] offset1:10
	v_pk_add_f32 v[50:51], v[24:25], v[8:9]
	v_pk_add_f32 v[8:9], v[10:11], v[8:9] neg_lo:[0,1] neg_hi:[0,1]
	v_pk_fma_f32 v[0:1], v[50:51], 0.5, v[0:1] op_sel_hi:[1,0,1] neg_lo:[1,0,0] neg_hi:[1,0,0]
	v_pk_add_f32 v[10:11], v[16:17], v[4:5]
	v_pk_add_f32 v[12:13], v[12:13], v[16:17] neg_lo:[0,1] neg_hi:[0,1]
	v_pk_add_f32 v[4:5], v[6:7], v[4:5] neg_lo:[0,1] neg_hi:[0,1]
	v_pk_mul_f32 v[6:7], v[22:23], s[2:3] op_sel_hi:[1,0]
	v_pk_add_f32 v[4:5], v[12:13], v[4:5]
	v_pk_mul_f32 v[12:13], v[14:15], s[10:11] op_sel_hi:[1,0]
	v_pk_add_f32 v[14:15], v[0:1], v[6:7] op_sel:[0,1] op_sel_hi:[1,0] neg_lo:[0,1] neg_hi:[0,1]
	v_pk_add_f32 v[0:1], v[0:1], v[6:7] op_sel:[0,1] op_sel_hi:[1,0]
	v_pk_fma_f32 v[10:11], v[10:11], 0.5, v[26:27] op_sel_hi:[1,0,1] neg_lo:[1,0,0] neg_hi:[1,0,0]
	v_pk_add_f32 v[0:1], v[0:1], v[12:13] op_sel:[0,1] op_sel_hi:[1,0] neg_lo:[0,1] neg_hi:[0,1]
	v_pk_add_f32 v[6:7], v[14:15], v[12:13] op_sel:[0,1] op_sel_hi:[1,0]
	v_pk_mul_f32 v[12:13], v[36:37], s[2:3] op_sel_hi:[1,0]
	v_pk_mul_f32 v[14:15], v[34:35], s[10:11] op_sel_hi:[1,0]
	v_pk_add_f32 v[16:17], v[10:11], v[12:13] op_sel:[0,1] op_sel_hi:[1,0] neg_lo:[0,1] neg_hi:[0,1]
	v_pk_add_f32 v[10:11], v[10:11], v[12:13] op_sel:[0,1] op_sel_hi:[1,0]
	v_pk_add_f32 v[12:13], v[16:17], v[14:15] op_sel:[0,1] op_sel_hi:[1,0]
	v_pk_add_f32 v[10:11], v[10:11], v[14:15] op_sel:[0,1] op_sel_hi:[1,0] neg_lo:[0,1] neg_hi:[0,1]
	v_mov_b32_e32 v14, v12
	v_mov_b32_e32 v15, v11
	v_pk_fma_f32 v[14:15], v[4:5], s[8:9], v[14:15] op_sel_hi:[1,0,1]
	v_mov_b32_e32 v11, v13
	v_pk_add_f32 v[18:19], v[18:19], v[24:25] neg_lo:[0,1] neg_hi:[0,1]
	v_pk_mul_f32 v[16:17], v[14:15], s[2:3] op_sel_hi:[1,0]
	v_pk_fma_f32 v[4:5], v[4:5], s[8:9], v[10:11] op_sel_hi:[1,0,1]
	v_pk_add_f32 v[8:9], v[18:19], v[8:9]
	v_pk_fma_f32 v[18:19], v[14:15], s[8:9], v[16:17] op_sel:[0,0,1] op_sel_hi:[1,0,0]
	v_pk_fma_f32 v[14:15], v[14:15], s[8:9], v[16:17] op_sel:[0,0,1] op_sel_hi:[1,0,0] neg_lo:[0,0,1] neg_hi:[0,0,1]
	v_mov_b32_e32 v16, v6
	v_mov_b32_e32 v17, v1
	;; [unrolled: 1-line block ×3, first 2 shown]
	v_pk_mul_f32 v[6:7], v[4:5], s[8:9] op_sel_hi:[1,0]
	v_pk_fma_f32 v[16:17], v[8:9], s[8:9], v[16:17] op_sel_hi:[1,0,1]
	v_mov_b32_e32 v19, v15
	v_pk_fma_f32 v[0:1], v[8:9], s[8:9], v[0:1] op_sel_hi:[1,0,1]
	v_pk_fma_f32 v[4:5], v[4:5], s[12:13], v[6:7] op_sel:[0,0,1] op_sel_hi:[1,1,0] neg_lo:[0,0,1] neg_hi:[0,0,1]
	v_pk_add_f32 v[14:15], v[16:17], v[18:19]
	v_pk_add_f32 v[6:7], v[0:1], v[4:5] op_sel:[0,1] op_sel_hi:[1,0]
	v_mov_b32_e32 v29, v39
	ds_write2_b64 v38, v[14:15], v[6:7] offset0:20 offset1:30
	v_pk_fma_f32 v[6:7], v[32:33], s[8:9], v[28:29] op_sel_hi:[1,0,1]
	v_mov_b32_e32 v3, v21
	v_pk_mul_f32 v[8:9], v[6:7], s[6:7] op_sel_hi:[1,0]
	v_pk_fma_f32 v[2:3], v[30:31], s[8:9], v[2:3] op_sel_hi:[1,0,1]
	v_pk_fma_f32 v[6:7], v[6:7], s[14:15], v[8:9] op_sel:[0,0,1] op_sel_hi:[1,1,0] neg_lo:[0,0,1] neg_hi:[0,0,1]
	v_pk_add_f32 v[0:1], v[0:1], v[4:5] op_sel:[0,1] op_sel_hi:[1,0] neg_lo:[0,1] neg_hi:[0,1]
	v_pk_add_f32 v[8:9], v[2:3], v[6:7] op_sel:[0,1] op_sel_hi:[1,0]
	v_pk_add_f32 v[2:3], v[2:3], v[6:7] op_sel:[0,1] op_sel_hi:[1,0] neg_lo:[0,1] neg_hi:[0,1]
	ds_write2_b64 v38, v[0:1], v[2:3] offset0:80 offset1:90
	v_mov_b32_e32 v0, 41
	v_pk_add_f32 v[10:11], v[40:41], v[44:45] neg_lo:[0,1] neg_hi:[0,1]
	v_mul_lo_u16_sdwa v0, v67, v0 dst_sel:DWORD dst_unused:UNUSED_PAD src0_sel:BYTE_0 src1_sel:DWORD
	ds_write2_b64 v38, v[8:9], v[10:11] offset0:40 offset1:50
	v_pk_add_f32 v[8:9], v[48:49], v[46:47] neg_lo:[0,1] neg_hi:[0,1]
	v_lshrrev_b16_e32 v49, 12, v0
	v_mul_lo_u16_e32 v0, 0x64, v49
	v_sub_u16_e32 v50, v67, v0
	v_lshrrev_b16_e32 v0, 2, v66
	v_mul_u32_u24_e32 v0, 0x147b, v0
	v_lshrrev_b32_e32 v46, 17, v0
	v_mul_lo_u16_e32 v0, 0x64, v46
	v_sub_u16_e32 v47, v66, v0
	v_add_u16_e32 v0, 0x168, v62
	v_add_u16_e32 v2, 0x1e0, v62
	v_lshrrev_b16_e32 v1, 2, v0
	v_lshrrev_b16_e32 v3, 2, v2
	v_mul_u32_u24_e32 v1, 0x147b, v1
	v_mul_u32_u24_e32 v3, 0x147b, v3
	v_lshrrev_b32_e32 v43, 17, v1
	v_lshrrev_b32_e32 v44, 17, v3
	v_mul_lo_u16_e32 v1, 0x64, v43
	v_mul_lo_u16_e32 v3, 0x64, v44
	v_sub_u16_e32 v45, v2, v3
	v_sub_u16_e32 v48, v0, v1
	v_mul_u32_u24_e32 v2, 5, v45
	v_mul_u32_u24_e32 v0, 5, v48
	v_pk_add_f32 v[10:11], v[16:17], v[18:19] neg_lo:[0,1] neg_hi:[0,1]
	v_lshlrev_b32_e32 v6, 3, v2
	v_lshlrev_b32_e32 v7, 3, v0
	v_mul_u32_u24_e32 v0, 5, v47
	ds_write2_b64 v38, v[8:9], v[10:11] offset0:60 offset1:70
	s_waitcnt lgkmcnt(0)
	s_barrier
	global_load_dwordx2 v[8:9], v6, s[4:5] offset:752
	global_load_dwordx2 v[10:11], v7, s[4:5] offset:752
	v_lshlrev_b32_e32 v30, 3, v0
	global_load_dwordx2 v[2:3], v30, s[4:5] offset:752
	v_mov_b32_e32 v0, 5
	v_mul_u32_u24_sdwa v0, v50, v0 dst_sel:DWORD dst_unused:UNUSED_PAD src0_sel:BYTE_0 src1_sel:DWORD
	v_lshlrev_b32_e32 v51, 3, v0
	global_load_dwordx2 v[0:1], v51, s[4:5] offset:752
	s_movk_i32 s2, 0x64
	v_add_u32_e32 v4, 0xffffff9c, v62
	v_cmp_gt_u32_e32 vcc, s2, v62
	v_mov_b32_e32 v5, 0
	s_mov_b32 s2, 0x3f5db3d7
	v_cndmask_b32_e32 v136, v4, v62, vcc
	v_mul_i32_i24_e32 v4, 5, v136
	v_lshl_add_u64 v[40:41], v[4:5], 3, s[4:5]
	global_load_dwordx4 v[18:21], v[40:41], off offset:736
	global_load_dwordx4 v[22:25], v51, s[4:5] offset:736
	global_load_dwordx4 v[26:29], v30, s[4:5] offset:736
	;; [unrolled: 1-line block ×4, first 2 shown]
	global_load_dwordx2 v[94:95], v[40:41], off offset:752
	global_load_dwordx4 v[56:59], v6, s[4:5] offset:720
	global_load_dwordx4 v[64:67], v7, s[4:5] offset:720
	;; [unrolled: 1-line block ×4, first 2 shown]
	global_load_dwordx4 v[90:93], v[40:41], off offset:720
	ds_read2_b64 v[12:15], v80 offset0:32 offset1:152
	ds_read2_b64 v[36:39], v86 offset0:48 offset1:168
	s_mov_b32 s3, 0xbf5db3d7
	s_movk_i32 s6, 0x63
	v_cmp_lt_u32_e32 vcc, s6, v62
	s_mov_b64 s[6:7], 0x2530
	s_waitcnt vmcnt(14) lgkmcnt(1)
	v_pk_mul_f32 v[16:17], v[14:15], v[8:9] op_sel:[0,1]
	s_nop 0
	v_pk_fma_f32 v[6:7], v[14:15], v[8:9], v[16:17] op_sel:[0,0,1] op_sel_hi:[1,1,0] neg_lo:[0,0,1] neg_hi:[0,0,1]
	v_pk_fma_f32 v[16:17], v[14:15], v[8:9], v[16:17] op_sel:[0,0,1] op_sel_hi:[1,0,0]
	s_waitcnt vmcnt(13)
	v_pk_mul_f32 v[14:15], v[12:13], v[10:11] op_sel:[0,1]
	v_lshlrev_b32_e32 v7, 3, v136
	v_pk_fma_f32 v[8:9], v[12:13], v[10:11], v[14:15] op_sel:[0,0,1] op_sel_hi:[1,1,0] neg_lo:[0,0,1] neg_hi:[0,0,1]
	v_pk_fma_f32 v[12:13], v[12:13], v[10:11], v[14:15] op_sel:[0,0,1] op_sel_hi:[1,0,0]
	s_waitcnt vmcnt(12) lgkmcnt(0)
	v_pk_mul_f32 v[10:11], v[38:39], v[2:3] op_sel:[0,1]
	ds_read2_b32 v[14:15], v85 offset0:16 offset1:17
	v_pk_fma_f32 v[30:31], v[38:39], v[2:3], v[10:11] op_sel:[0,0,1] op_sel_hi:[1,1,0] neg_lo:[0,0,1] neg_hi:[0,0,1]
	v_pk_fma_f32 v[38:39], v[38:39], v[2:3], v[10:11] op_sel:[0,0,1] op_sel_hi:[1,0,0]
	s_waitcnt vmcnt(11)
	v_pk_mul_f32 v[2:3], v[36:37], v[0:1] op_sel:[0,1]
	v_mov_b32_e32 v31, v39
	v_pk_fma_f32 v[96:97], v[36:37], v[0:1], v[2:3] op_sel:[0,0,1] op_sel_hi:[1,1,0] neg_lo:[0,0,1] neg_hi:[0,0,1]
	v_pk_fma_f32 v[98:99], v[36:37], v[0:1], v[2:3] op_sel:[0,0,1] op_sel_hi:[1,0,0]
	ds_read2_b64 v[0:3], v89 offset0:96 offset1:216
	s_waitcnt lgkmcnt(1)
	v_mov_b32_e32 v4, v15
	s_waitcnt vmcnt(10)
	v_pk_mul_f32 v[10:11], v[4:5], v[18:19] op_sel_hi:[0,1]
	v_mov_b32_e32 v4, v21
	v_pk_fma_f32 v[100:101], v[18:19], v[14:15], v[10:11] op_sel:[0,0,1] op_sel_hi:[1,1,0] neg_lo:[0,0,1] neg_hi:[0,0,1]
	v_pk_fma_f32 v[102:103], v[18:19], v[14:15], v[10:11] op_sel:[0,0,1] op_sel_hi:[1,0,0]
	s_waitcnt lgkmcnt(0)
	v_pk_mul_f32 v[10:11], v[0:1], v[4:5] op_sel_hi:[1,0]
	s_waitcnt vmcnt(8)
	v_mov_b32_e32 v4, v29
	v_pk_fma_f32 v[104:105], v[0:1], v[20:21], v[10:11] op_sel:[0,0,1] op_sel_hi:[1,1,0] neg_lo:[0,0,1] neg_hi:[0,0,1]
	v_pk_fma_f32 v[106:107], v[0:1], v[20:21], v[10:11] op_sel:[0,0,1] op_sel_hi:[1,0,0]
	ds_read2_b64 v[18:21], v85 offset0:128 offset1:248
	v_mov_b32_e32 v0, v25
	v_pk_mul_f32 v[0:1], v[2:3], v[0:1] op_sel_hi:[1,0]
	v_mov_b32_e32 v105, v107
	v_pk_fma_f32 v[108:109], v[2:3], v[24:25], v[0:1] op_sel:[0,0,1] op_sel_hi:[1,1,0] neg_lo:[0,0,1] neg_hi:[0,0,1]
	v_pk_fma_f32 v[110:111], v[2:3], v[24:25], v[0:1] op_sel:[0,0,1] op_sel_hi:[1,0,0]
	s_waitcnt lgkmcnt(0)
	v_pk_mul_f32 v[0:1], v[18:19], v[22:23] op_sel:[0,1]
	v_pk_mul_f32 v[10:11], v[20:21], v[26:27] op_sel:[0,1]
	v_pk_fma_f32 v[112:113], v[18:19], v[22:23], v[0:1] op_sel:[0,0,1] op_sel_hi:[1,1,0] neg_lo:[0,0,1] neg_hi:[0,0,1]
	v_pk_fma_f32 v[114:115], v[18:19], v[22:23], v[0:1] op_sel:[0,0,1] op_sel_hi:[1,0,0]
	ds_read2_b64 v[0:3], v82 offset0:80 offset1:200
	v_pk_fma_f32 v[116:117], v[20:21], v[26:27], v[10:11] op_sel:[0,0,1] op_sel_hi:[1,1,0] neg_lo:[0,0,1] neg_hi:[0,0,1]
	v_pk_fma_f32 v[118:119], v[20:21], v[26:27], v[10:11] op_sel:[0,0,1] op_sel_hi:[1,0,0]
	ds_read2_b64 v[18:21], v63 offset0:112 offset1:232
	v_mov_b32_e32 v101, v103
	s_waitcnt lgkmcnt(1)
	v_pk_mul_f32 v[10:11], v[0:1], v[4:5] op_sel_hi:[1,0]
	s_waitcnt vmcnt(6)
	v_mov_b32_e32 v4, v55
	v_pk_fma_f32 v[120:121], v[0:1], v[28:29], v[10:11] op_sel:[0,0,1] op_sel_hi:[1,1,0] neg_lo:[0,0,1] neg_hi:[0,0,1]
	v_pk_fma_f32 v[122:123], v[0:1], v[28:29], v[10:11] op_sel:[0,0,1] op_sel_hi:[1,0,0]
	v_mov_b32_e32 v0, v35
	v_pk_mul_f32 v[0:1], v[2:3], v[0:1] op_sel_hi:[1,0]
	s_waitcnt lgkmcnt(0)
	v_pk_mul_f32 v[14:15], v[20:21], v[52:53] op_sel:[0,1]
	v_pk_fma_f32 v[24:25], v[2:3], v[34:35], v[0:1] op_sel:[0,0,1] op_sel_hi:[1,1,0] neg_lo:[0,0,1] neg_hi:[0,0,1]
	v_pk_fma_f32 v[28:29], v[2:3], v[34:35], v[0:1] op_sel:[0,0,1] op_sel_hi:[1,0,0]
	v_pk_mul_f32 v[0:1], v[18:19], v[32:33] op_sel:[0,1]
	v_pk_fma_f32 v[10:11], v[20:21], v[52:53], v[14:15] op_sel:[0,0,1] op_sel_hi:[1,1,0] neg_lo:[0,0,1] neg_hi:[0,0,1]
	v_pk_fma_f32 v[22:23], v[18:19], v[32:33], v[0:1] op_sel:[0,0,1] op_sel_hi:[1,1,0] neg_lo:[0,0,1] neg_hi:[0,0,1]
	v_pk_fma_f32 v[32:33], v[18:19], v[32:33], v[0:1] op_sel:[0,0,1] op_sel_hi:[1,0,0]
	ds_read2_b64 v[0:3], v77 offset0:64 offset1:184
	v_pk_fma_f32 v[36:37], v[20:21], v[52:53], v[14:15] op_sel:[0,0,1] op_sel_hi:[1,0,0]
	v_mov_b32_e32 v109, v111
	v_mov_b32_e32 v113, v115
	;; [unrolled: 1-line block ×3, first 2 shown]
	s_waitcnt lgkmcnt(0)
	v_pk_mul_f32 v[18:19], v[0:1], v[4:5] op_sel_hi:[1,0]
	s_waitcnt vmcnt(4)
	v_mov_b32_e32 v4, v59
	v_pk_fma_f32 v[14:15], v[0:1], v[54:55], v[18:19] op_sel:[0,0,1] op_sel_hi:[1,1,0] neg_lo:[0,0,1] neg_hi:[0,0,1]
	v_pk_fma_f32 v[40:41], v[0:1], v[54:55], v[18:19] op_sel:[0,0,1] op_sel_hi:[1,0,0]
	v_pk_mul_f32 v[0:1], v[2:3], v[94:95] op_sel:[0,1]
	ds_read_b64 v[18:19], v76 offset:13440
	v_pk_fma_f32 v[124:125], v[2:3], v[94:95], v[0:1] op_sel:[0,0,1] op_sel_hi:[1,1,0] neg_lo:[0,0,1] neg_hi:[0,0,1]
	v_pk_fma_f32 v[52:53], v[2:3], v[94:95], v[0:1] op_sel:[0,0,1] op_sel_hi:[1,0,0]
	ds_read2_b64 v[0:3], v83 offset0:64 offset1:184
	v_mov_b32_e32 v125, v53
	s_waitcnt lgkmcnt(1)
	v_pk_mul_f32 v[26:27], v[18:19], v[4:5] op_sel_hi:[1,0]
	s_waitcnt vmcnt(3)
	v_mov_b32_e32 v4, v67
	v_pk_fma_f32 v[20:21], v[18:19], v[58:59], v[26:27] op_sel:[0,0,1] op_sel_hi:[1,1,0] neg_lo:[0,0,1] neg_hi:[0,0,1]
	v_pk_fma_f32 v[94:95], v[18:19], v[58:59], v[26:27] op_sel:[0,0,1] op_sel_hi:[1,0,0]
	s_waitcnt lgkmcnt(0)
	v_pk_mul_f32 v[26:27], v[2:3], v[56:57] op_sel:[0,1]
	v_mov_b32_e32 v121, v123
	v_pk_fma_f32 v[18:19], v[2:3], v[56:57], v[26:27] op_sel:[0,0,1] op_sel_hi:[1,1,0] neg_lo:[0,0,1] neg_hi:[0,0,1]
	v_pk_fma_f32 v[126:127], v[2:3], v[56:57], v[26:27] op_sel:[0,0,1] op_sel_hi:[1,0,0]
	v_pk_mul_f32 v[2:3], v[0:1], v[64:65] op_sel:[0,1]
	v_mov_b32_e32 v117, v119
	v_pk_fma_f32 v[26:27], v[0:1], v[64:65], v[2:3] op_sel:[0,0,1] op_sel_hi:[1,1,0] neg_lo:[0,0,1] neg_hi:[0,0,1]
	v_pk_fma_f32 v[64:65], v[0:1], v[64:65], v[2:3] op_sel:[0,0,1] op_sel_hi:[1,0,0]
	ds_read2_b64 v[0:3], v78 offset0:32 offset1:152
	v_mov_b32_e32 v25, v29
	v_lshlrev_b32_e32 v12, 3, v48
	v_mov_b32_e32 v27, v65
	v_mov_b32_e32 v23, v33
	s_waitcnt lgkmcnt(0)
	v_pk_mul_f32 v[54:55], v[2:3], v[4:5] op_sel_hi:[1,0]
	s_waitcnt vmcnt(1)
	v_mov_b32_e32 v4, v75
	v_pk_fma_f32 v[34:35], v[2:3], v[66:67], v[54:55] op_sel:[0,0,1] op_sel_hi:[1,1,0] neg_lo:[0,0,1] neg_hi:[0,0,1]
	v_pk_fma_f32 v[66:67], v[2:3], v[66:67], v[54:55] op_sel:[0,0,1] op_sel_hi:[1,0,0]
	v_mov_b32_e32 v2, v71
	v_pk_mul_f32 v[2:3], v[0:1], v[2:3] op_sel_hi:[1,0]
	v_mov_b32_e32 v35, v67
	v_pk_fma_f32 v[128:129], v[0:1], v[70:71], v[2:3] op_sel:[0,0,1] op_sel_hi:[1,1,0] neg_lo:[0,0,1] neg_hi:[0,0,1]
	v_pk_fma_f32 v[70:71], v[0:1], v[70:71], v[2:3] op_sel:[0,0,1] op_sel_hi:[1,0,0]
	ds_read2_b64 v[0:3], v79 offset0:80 offset1:200
	v_mov_b32_e32 v129, v71
	v_pk_add_f32 v[38:39], v[128:129], v[120:121]
	v_pk_add_f32 v[32:33], v[26:27], v[22:23]
	v_mov_b32_e32 v11, v37
	s_waitcnt lgkmcnt(0)
	v_pk_mul_f32 v[54:55], v[2:3], v[68:69] op_sel:[0,1]
	v_mov_b32_e32 v21, v95
	v_pk_fma_f32 v[130:131], v[2:3], v[68:69], v[54:55] op_sel:[0,0,1] op_sel_hi:[1,1,0] neg_lo:[0,0,1] neg_hi:[0,0,1]
	v_pk_fma_f32 v[68:69], v[2:3], v[68:69], v[54:55] op_sel:[0,0,1] op_sel_hi:[1,0,0]
	v_pk_mul_f32 v[2:3], v[0:1], v[72:73] op_sel:[0,1]
	v_mov_b32_e32 v131, v69
	v_pk_fma_f32 v[132:133], v[0:1], v[72:73], v[2:3] op_sel:[0,0,1] op_sel_hi:[1,1,0] neg_lo:[0,0,1] neg_hi:[0,0,1]
	v_pk_fma_f32 v[72:73], v[0:1], v[72:73], v[2:3] op_sel:[0,0,1] op_sel_hi:[1,0,0]
	ds_read2_b64 v[0:3], v87 offset0:48 offset1:168
	v_mov_b32_e32 v133, v73
	v_mov_b32_e32 v15, v41
	;; [unrolled: 1-line block ×3, first 2 shown]
	s_waitcnt lgkmcnt(0)
	v_pk_mul_f32 v[54:55], v[2:3], v[4:5] op_sel_hi:[1,0]
	s_nop 0
	v_pk_fma_f32 v[134:135], v[2:3], v[74:75], v[54:55] op_sel:[0,0,1] op_sel_hi:[1,1,0] neg_lo:[0,0,1] neg_hi:[0,0,1]
	v_pk_fma_f32 v[74:75], v[2:3], v[74:75], v[54:55] op_sel:[0,0,1] op_sel_hi:[1,0,0]
	s_waitcnt vmcnt(0)
	v_pk_mul_f32 v[2:3], v[92:93], v[0:1] op_sel:[0,1]
	v_mov_b32_e32 v4, 0x12c0
	v_pk_fma_f32 v[56:57], v[92:93], v[0:1], v[2:3] op_sel:[0,0,1] op_sel_hi:[1,1,0] neg_lo:[0,0,1] neg_hi:[0,0,1]
	v_pk_fma_f32 v[54:55], v[92:93], v[0:1], v[2:3] op_sel:[0,0,1] op_sel_hi:[1,0,0]
	ds_read2_b64 v[0:3], v81 offset0:96 offset1:216
	v_mov_b32_e32 v57, v55
	ds_read2_b64 v[52:55], v76 offset1:120
	v_cndmask_b32_e32 v4, 0, v4, vcc
	v_add3_u32 v4, 0, v4, v7
	s_waitcnt lgkmcnt(1)
	v_pk_mul_f32 v[58:59], v[90:91], v[2:3] op_sel:[0,1]
	v_add_u32_e32 v7, 0x400, v4
	v_pk_fma_f32 v[92:93], v[90:91], v[2:3], v[58:59] op_sel:[0,0,1] op_sel_hi:[1,1,0] neg_lo:[0,0,1] neg_hi:[0,0,1]
	v_pk_fma_f32 v[2:3], v[90:91], v[2:3], v[58:59] op_sel:[0,0,1] op_sel_hi:[1,0,0]
	v_pk_add_f32 v[58:59], v[56:57], v[104:105]
	v_mov_b32_e32 v93, v3
	s_waitcnt lgkmcnt(0)
	v_pk_add_f32 v[2:3], v[52:53], v[56:57]
	v_pk_add_f32 v[56:57], v[56:57], v[104:105] neg_lo:[0,1] neg_hi:[0,1]
	v_pk_fma_f32 v[52:53], v[58:59], 0.5, v[52:53] op_sel_hi:[1,0,1] neg_lo:[1,0,0] neg_hi:[1,0,0]
	v_pk_mul_f32 v[56:57], v[56:57], s[2:3] op_sel_hi:[1,0]
	v_pk_add_f32 v[58:59], v[92:93], v[100:101]
	v_pk_add_f32 v[90:91], v[56:57], v[52:53] op_sel:[1,0] op_sel_hi:[0,1]
	v_pk_add_f32 v[52:53], v[52:53], v[56:57] op_sel:[0,1] op_sel_hi:[1,0] neg_lo:[0,1] neg_hi:[0,1]
	v_pk_add_f32 v[56:57], v[100:101], v[124:125]
	v_pk_add_f32 v[2:3], v[2:3], v[104:105]
	v_pk_fma_f32 v[56:57], v[56:57], 0.5, v[92:93] op_sel_hi:[1,0,1] neg_lo:[1,0,0] neg_hi:[1,0,0]
	v_pk_add_f32 v[92:93], v[58:59], v[124:125]
	v_pk_add_f32 v[58:59], v[100:101], v[124:125] neg_lo:[0,1] neg_hi:[0,1]
	v_mov_b32_e32 v106, v52
	v_pk_fma_f32 v[100:101], v[58:59], s[2:3], v[56:57] op_sel:[0,0,1] op_sel_hi:[1,0,0]
	v_pk_fma_f32 v[102:103], v[58:59], s[2:3], v[56:57] op_sel:[0,0,1] op_sel_hi:[1,0,0] neg_lo:[1,0,0] neg_hi:[1,0,0]
	v_mov_b32_e32 v56, v100
	v_mov_b32_e32 v57, v103
	v_pk_mul_f32 v[58:59], v[56:57], 0.5 op_sel_hi:[1,0]
	v_mov_b32_e32 v107, v91
	v_pk_fma_f32 v[104:105], v[56:57], s[2:3], v[58:59] op_sel:[0,0,1] op_sel_hi:[1,1,0] neg_lo:[0,0,1] neg_hi:[0,0,1]
	v_pk_add_f32 v[136:137], v[2:3], v[92:93] neg_lo:[0,1] neg_hi:[0,1]
	v_pk_add_f32 v[124:125], v[106:107], v[104:105]
	ds_read2_b64 v[56:59], v88 offset0:112 offset1:232
	s_waitcnt lgkmcnt(0)
	s_barrier
	ds_write2_b64 v7, v[124:125], v[136:137] offset0:72 offset1:172
	v_mul_f32_e32 v7, 0x3f5db3d7, v102
	v_mul_f32_e32 v9, 0xbf5db3d7, v101
	v_fmac_f32_e32 v7, 0.5, v101
	v_fmac_f32_e32 v9, 0.5, v102
	v_pk_add_f32 v[2:3], v[2:3], v[92:93]
	v_add_f32_e32 v92, v90, v7
	v_add_f32_e32 v93, v53, v9
	ds_write2_b64 v4, v[2:3], v[92:93] offset1:100
	v_sub_f32_e32 v2, v90, v7
	v_sub_f32_e32 v3, v53, v9
	v_pk_add_f32 v[52:53], v[106:107], v[104:105] neg_lo:[0,1] neg_hi:[0,1]
	v_add_u32_e32 v4, 0x800, v4
	v_mov_b32_e32 v135, v75
	ds_write2_b64 v4, v[2:3], v[52:53] offset0:144 offset1:244
	v_pk_add_f32 v[2:3], v[134:135], v[108:109]
	v_pk_add_f32 v[52:53], v[54:55], v[134:135]
	v_pk_fma_f32 v[2:3], v[2:3], 0.5, v[54:55] op_sel_hi:[1,0,1] neg_lo:[1,0,0] neg_hi:[1,0,0]
	v_pk_add_f32 v[54:55], v[134:135], v[108:109] neg_lo:[0,1] neg_hi:[0,1]
	v_pk_add_f32 v[90:91], v[112:113], v[96:97] neg_lo:[0,1] neg_hi:[0,1]
	v_pk_mul_f32 v[54:55], v[54:55], s[2:3] op_sel_hi:[1,0]
	v_pk_add_f32 v[74:75], v[132:133], v[112:113]
	v_pk_add_f32 v[72:73], v[54:55], v[2:3] op_sel:[1,0] op_sel_hi:[0,1]
	v_pk_add_f32 v[2:3], v[2:3], v[54:55] op_sel:[0,1] op_sel_hi:[1,0] neg_lo:[0,1] neg_hi:[0,1]
	v_pk_add_f32 v[54:55], v[112:113], v[96:97]
	v_pk_add_f32 v[74:75], v[74:75], v[96:97]
	v_pk_fma_f32 v[54:55], v[54:55], 0.5, v[132:133] op_sel_hi:[1,0,1] neg_lo:[1,0,0] neg_hi:[1,0,0]
	v_lshlrev_b32_sdwa v4, v42, v50 dst_sel:DWORD dst_unused:UNUSED_PAD src0_sel:DWORD src1_sel:BYTE_0
	v_pk_fma_f32 v[92:93], v[90:91], s[2:3], v[54:55] op_sel:[0,0,1] op_sel_hi:[1,0,0]
	v_pk_fma_f32 v[54:55], v[90:91], s[2:3], v[54:55] op_sel:[0,0,1] op_sel_hi:[1,0,0] neg_lo:[1,0,0] neg_hi:[1,0,0]
	v_mov_b32_e32 v90, v92
	v_mov_b32_e32 v91, v55
	v_pk_mul_f32 v[96:97], v[90:91], 0.5 op_sel_hi:[1,0]
	v_mul_u32_u24_e32 v7, 0x12c0, v49
	v_pk_add_f32 v[52:53], v[52:53], v[108:109]
	v_pk_fma_f32 v[90:91], v[90:91], s[2:3], v[96:97] op_sel:[0,0,1] op_sel_hi:[1,1,0] neg_lo:[0,0,1] neg_hi:[0,0,1]
	v_add3_u32 v4, 0, v7, v4
	v_mov_b32_e32 v50, v2
	v_mov_b32_e32 v51, v73
	v_add_u32_e32 v2, 0x400, v4
	v_pk_add_f32 v[96:97], v[50:51], v[90:91]
	v_pk_add_f32 v[98:99], v[52:53], v[74:75] neg_lo:[0,1] neg_hi:[0,1]
	ds_write2_b64 v2, v[96:97], v[98:99] offset0:72 offset1:172
	v_mul_f32_e32 v2, 0x3f5db3d7, v54
	v_mul_f32_e32 v7, 0xbf5db3d7, v93
	v_fmac_f32_e32 v2, 0.5, v93
	v_fmac_f32_e32 v7, 0.5, v54
	v_pk_add_f32 v[52:53], v[52:53], v[74:75]
	v_add_f32_e32 v54, v72, v2
	v_add_f32_e32 v55, v3, v7
	ds_write2_b64 v4, v[52:53], v[54:55] offset1:100
	v_sub_f32_e32 v2, v72, v2
	v_sub_f32_e32 v3, v3, v7
	v_pk_add_f32 v[50:51], v[50:51], v[90:91] neg_lo:[0,1] neg_hi:[0,1]
	v_add_u32_e32 v4, 0x800, v4
	ds_write2_b64 v4, v[2:3], v[50:51] offset0:144 offset1:244
	v_pk_add_f32 v[50:51], v[128:129], v[120:121] neg_lo:[0,1] neg_hi:[0,1]
	v_pk_fma_f32 v[38:39], v[38:39], 0.5, v[56:57] op_sel_hi:[1,0,1] neg_lo:[1,0,0] neg_hi:[1,0,0]
	v_pk_mul_f32 v[50:51], v[50:51], s[2:3] op_sel_hi:[1,0]
	v_pk_add_f32 v[54:55], v[130:131], v[116:117]
	v_pk_add_f32 v[52:53], v[50:51], v[38:39] op_sel:[1,0] op_sel_hi:[0,1]
	v_pk_add_f32 v[38:39], v[38:39], v[50:51] op_sel:[0,1] op_sel_hi:[1,0] neg_lo:[0,1] neg_hi:[0,1]
	v_pk_add_f32 v[50:51], v[116:117], v[30:31]
	v_pk_add_f32 v[54:55], v[54:55], v[30:31]
	v_pk_fma_f32 v[50:51], v[50:51], 0.5, v[130:131] op_sel_hi:[1,0,1] neg_lo:[1,0,0] neg_hi:[1,0,0]
	v_pk_add_f32 v[30:31], v[116:117], v[30:31] neg_lo:[0,1] neg_hi:[0,1]
	v_pk_add_f32 v[2:3], v[56:57], v[128:129]
	v_pk_fma_f32 v[56:57], v[30:31], s[2:3], v[50:51] op_sel:[0,0,1] op_sel_hi:[1,0,0]
	v_pk_fma_f32 v[30:31], v[30:31], s[2:3], v[50:51] op_sel:[0,0,1] op_sel_hi:[1,0,0] neg_lo:[1,0,0] neg_hi:[1,0,0]
	v_mov_b32_e32 v50, v56
	v_mov_b32_e32 v51, v31
	v_pk_mul_f32 v[68:69], v[50:51], 0.5 op_sel_hi:[1,0]
	v_mul_u32_u24_e32 v4, 0x12c0, v46
	v_lshlrev_b32_e32 v7, 3, v47
	v_pk_add_f32 v[2:3], v[2:3], v[120:121]
	v_pk_fma_f32 v[50:51], v[50:51], s[2:3], v[68:69] op_sel:[0,0,1] op_sel_hi:[1,1,0] neg_lo:[0,0,1] neg_hi:[0,0,1]
	v_add3_u32 v4, 0, v4, v7
	v_mov_b32_e32 v46, v38
	v_mov_b32_e32 v47, v53
	v_add_u32_e32 v7, 0x400, v4
	v_pk_add_f32 v[68:69], v[46:47], v[50:51]
	v_pk_add_f32 v[70:71], v[2:3], v[54:55] neg_lo:[0,1] neg_hi:[0,1]
	ds_write2_b64 v7, v[68:69], v[70:71] offset0:72 offset1:172
	v_mul_f32_e32 v7, 0x3f5db3d7, v30
	v_mul_f32_e32 v9, 0xbf5db3d7, v57
	v_fmac_f32_e32 v7, 0.5, v57
	v_fmac_f32_e32 v9, 0.5, v30
	v_pk_add_f32 v[2:3], v[2:3], v[54:55]
	v_add_f32_e32 v30, v52, v7
	v_add_f32_e32 v31, v39, v9
	ds_write2_b64 v4, v[2:3], v[30:31] offset1:100
	v_sub_f32_e32 v2, v52, v7
	v_sub_f32_e32 v3, v39, v9
	v_pk_add_f32 v[28:29], v[46:47], v[50:51] neg_lo:[0,1] neg_hi:[0,1]
	v_add_u32_e32 v4, 0x800, v4
	v_mul_u32_u24_e32 v9, 0x12c0, v43
	ds_write2_b64 v4, v[2:3], v[28:29] offset0:144 offset1:244
	v_pk_add_f32 v[2:3], v[58:59], v[34:35]
	v_add3_u32 v38, 0, v9, v12
	v_mul_u32_u24_e32 v9, 0x12c0, v44
	v_lshlrev_b32_e32 v12, 3, v45
	v_pk_add_f32 v[2:3], v[2:3], v[24:25]
	v_pk_add_f32 v[28:29], v[34:35], v[24:25]
	v_pk_add_f32 v[24:25], v[34:35], v[24:25] neg_lo:[0,1] neg_hi:[0,1]
	v_add3_u32 v39, 0, v9, v12
	v_mov_b32_e32 v9, v13
	v_pk_fma_f32 v[28:29], v[28:29], 0.5, v[58:59] op_sel_hi:[1,0,1] neg_lo:[1,0,0] neg_hi:[1,0,0]
	v_pk_mul_f32 v[24:25], v[24:25], s[2:3] op_sel_hi:[1,0]
	v_pk_add_f32 v[32:33], v[32:33], v[8:9]
	v_pk_add_f32 v[34:35], v[24:25], v[28:29] op_sel:[1,0] op_sel_hi:[0,1]
	v_pk_add_f32 v[24:25], v[28:29], v[24:25] op_sel:[0,1] op_sel_hi:[1,0] neg_lo:[0,1] neg_hi:[0,1]
	v_pk_add_f32 v[28:29], v[22:23], v[8:9]
	v_pk_add_f32 v[8:9], v[22:23], v[8:9] neg_lo:[0,1] neg_hi:[0,1]
	v_pk_fma_f32 v[26:27], v[28:29], 0.5, v[26:27] op_sel_hi:[1,0,1] neg_lo:[1,0,0] neg_hi:[1,0,0]
	v_mov_b32_e32 v29, v35
	v_pk_fma_f32 v[22:23], v[8:9], s[2:3], v[26:27] op_sel:[0,0,1] op_sel_hi:[1,0,0]
	v_pk_fma_f32 v[8:9], v[8:9], s[2:3], v[26:27] op_sel:[0,0,1] op_sel_hi:[1,0,0] neg_lo:[1,0,0] neg_hi:[1,0,0]
	v_mov_b32_e32 v26, v22
	v_mov_b32_e32 v27, v9
	v_mul_f32_e32 v35, 0xbf5db3d7, v23
	v_mul_f32_e32 v4, 0x3f5db3d7, v8
	v_fmac_f32_e32 v35, 0.5, v8
	v_pk_mul_f32 v[8:9], v[26:27], 0.5 op_sel_hi:[1,0]
	v_mov_b32_e32 v28, v24
	v_fmac_f32_e32 v4, 0.5, v23
	v_pk_fma_f32 v[8:9], v[26:27], s[2:3], v[8:9] op_sel:[0,0,1] op_sel_hi:[1,1,0] neg_lo:[0,0,1] neg_hi:[0,0,1]
	v_pk_add_f32 v[36:37], v[2:3], v[32:33]
	v_add_f32_e32 v22, v34, v4
	v_sub_f32_e32 v24, v34, v4
	v_pk_add_f32 v[26:27], v[28:29], v[8:9]
	v_pk_add_f32 v[2:3], v[2:3], v[32:33] neg_lo:[0,1] neg_hi:[0,1]
	v_add_u32_e32 v4, 0x400, v38
	v_add_f32_e32 v23, v25, v35
	v_sub_f32_e32 v25, v25, v35
	ds_write2_b64 v4, v[26:27], v[2:3] offset0:72 offset1:172
	v_pk_add_f32 v[2:3], v[28:29], v[8:9] neg_lo:[0,1] neg_hi:[0,1]
	v_add_u32_e32 v4, 0x800, v38
	v_mov_b32_e32 v7, v17
	v_pk_add_f32 v[16:17], v[0:1], v[20:21]
	ds_write2_b64 v4, v[24:25], v[2:3] offset0:144 offset1:244
	v_pk_add_f32 v[2:3], v[20:21], v[14:15]
	v_pk_add_f32 v[16:17], v[16:17], v[14:15]
	;; [unrolled: 1-line block ×3, first 2 shown]
	v_pk_fma_f32 v[0:1], v[2:3], 0.5, v[0:1] op_sel_hi:[1,0,1] neg_lo:[1,0,0] neg_hi:[1,0,0]
	v_pk_add_f32 v[2:3], v[20:21], v[14:15] neg_lo:[0,1] neg_hi:[0,1]
	v_pk_add_f32 v[14:15], v[10:11], v[6:7]
	v_pk_add_f32 v[12:13], v[12:13], v[6:7]
	v_pk_fma_f32 v[14:15], v[14:15], 0.5, v[18:19] op_sel_hi:[1,0,1] neg_lo:[1,0,0] neg_hi:[1,0,0]
	v_pk_add_f32 v[6:7], v[10:11], v[6:7] neg_lo:[0,1] neg_hi:[0,1]
	v_pk_mul_f32 v[2:3], v[2:3], s[2:3] op_sel_hi:[1,0]
	v_pk_fma_f32 v[10:11], v[6:7], s[2:3], v[14:15] op_sel:[0,0,1] op_sel_hi:[1,0,0]
	v_pk_fma_f32 v[6:7], v[6:7], s[2:3], v[14:15] op_sel:[0,0,1] op_sel_hi:[1,0,0] neg_lo:[1,0,0] neg_hi:[1,0,0]
	v_pk_add_f32 v[8:9], v[2:3], v[0:1] op_sel:[1,0] op_sel_hi:[0,1]
	v_pk_add_f32 v[0:1], v[0:1], v[2:3] op_sel:[0,1] op_sel_hi:[1,0] neg_lo:[0,1] neg_hi:[0,1]
	v_mov_b32_e32 v14, v10
	v_mov_b32_e32 v15, v7
	v_mul_f32_e32 v4, 0xbf5db3d7, v11
	v_mov_b32_e32 v2, v0
	v_mul_f32_e32 v0, 0x3f5db3d7, v6
	v_fmac_f32_e32 v4, 0.5, v6
	v_pk_mul_f32 v[6:7], v[14:15], 0.5 op_sel_hi:[1,0]
	v_mov_b32_e32 v3, v9
	v_fmac_f32_e32 v0, 0.5, v11
	v_pk_fma_f32 v[6:7], v[14:15], s[2:3], v[6:7] op_sel:[0,0,1] op_sel_hi:[1,1,0] neg_lo:[0,0,1] neg_hi:[0,0,1]
	v_add_f32_e32 v10, v8, v0
	v_add_f32_e32 v11, v1, v4
	v_pk_add_f32 v[14:15], v[2:3], v[6:7]
	v_sub_f32_e32 v0, v8, v0
	v_sub_f32_e32 v1, v1, v4
	v_pk_add_f32 v[8:9], v[16:17], v[12:13] neg_lo:[0,1] neg_hi:[0,1]
	v_add_u32_e32 v4, 0x400, v39
	ds_write2_b64 v38, v[36:37], v[22:23] offset1:100
	ds_write2_b64 v4, v[14:15], v[8:9] offset0:72 offset1:172
	v_pk_add_f32 v[2:3], v[2:3], v[6:7] neg_lo:[0,1] neg_hi:[0,1]
	v_add_u32_e32 v4, 0x800, v39
	ds_write2_b64 v4, v[0:1], v[2:3] offset0:144 offset1:244
	v_mul_u32_u24_e32 v0, 5, v62
	v_lshlrev_b32_e32 v4, 3, v0
	v_lshl_add_u64 v[0:1], s[4:5], 0, v[4:5]
	v_pk_add_f32 v[30:31], v[16:17], v[12:13]
	v_lshl_add_u64 v[12:13], v[0:1], 0, s[6:7]
	ds_write2_b64 v39, v[30:31], v[10:11] offset1:100
	s_waitcnt lgkmcnt(0)
	s_barrier
	global_load_dwordx2 v[2:3], v[12:13], off offset:32
	s_mov_b64 s[6:7], 0x37f0
	v_lshl_add_u64 v[14:15], v[0:1], 0, s[6:7]
	global_load_dwordx2 v[8:9], v[14:15], off offset:32
	s_mov_b64 s[6:7], 0x4ab0
	v_add_u32_e32 v4, 0x4b00, v4
	v_lshl_add_u64 v[16:17], v[0:1], 0, s[6:7]
	global_load_dwordx2 v[6:7], v[16:17], off offset:32
	s_mov_b64 s[6:7], 0x1270
	v_lshl_add_u64 v[18:19], s[4:5], 0, v[4:5]
	v_lshl_add_u64 v[20:21], v[18:19], 0, s[6:7]
	global_load_dwordx2 v[10:11], v[20:21], off offset:32
	v_lshl_add_u64 v[22:23], v[0:1], 0, s[6:7]
	global_load_dwordx2 v[72:73], v[22:23], off offset:32
	global_load_dwordx4 v[24:27], v[20:21], off offset:16
	global_load_dwordx4 v[32:35], v[16:17], off offset:16
	;; [unrolled: 1-line block ×5, first 2 shown]
	v_add_co_u32_e32 v16, vcc, s9, v18
	s_movk_i32 s4, 0x4000
	s_nop 0
	v_addc_co_u32_e32 v17, vcc, 0, v19, vcc
	global_load_dwordx4 v[48:51], v[16:17], off offset:624
	v_add_co_u32_e32 v16, vcc, s4, v0
	ds_read2_b64 v[12:15], v86 offset0:48 offset1:168
	s_nop 0
	v_addc_co_u32_e32 v17, vcc, 0, v1, vcc
	global_load_dwordx4 v[52:55], v[16:17], off offset:2736
	v_add_co_u32_e32 v16, vcc, s17, v0
	s_waitcnt vmcnt(11) lgkmcnt(0)
	v_pk_mul_f32 v[20:21], v[12:13], v[2:3] op_sel:[0,1]
	v_addc_co_u32_e32 v17, vcc, 0, v1, vcc
	global_load_dwordx4 v[56:59], v[16:17], off offset:2032
	v_add_co_u32_e32 v16, vcc, s16, v0
	v_pk_fma_f32 v[90:91], v[12:13], v[2:3], v[20:21] op_sel:[0,0,1] op_sel_hi:[1,1,0] neg_lo:[0,0,1] neg_hi:[0,0,1]
	s_nop 0
	v_addc_co_u32_e32 v17, vcc, 0, v1, vcc
	global_load_dwordx4 v[64:67], v[16:17], off offset:1328
	v_add_co_u32_e32 v0, vcc, s9, v0
	v_pk_fma_f32 v[92:93], v[12:13], v[2:3], v[20:21] op_sel:[0,0,1] op_sel_hi:[1,0,0]
	s_nop 0
	v_addc_co_u32_e32 v1, vcc, 0, v1, vcc
	global_load_dwordx4 v[68:71], v[0:1], off offset:624
	ds_read2_b64 v[16:19], v80 offset0:32 offset1:152
	ds_read2_b64 v[20:23], v77 offset0:64 offset1:184
	s_waitcnt vmcnt(13)
	v_pk_mul_f32 v[2:3], v[14:15], v[8:9] op_sel:[0,1]
	s_waitcnt vmcnt(9)
	v_mov_b32_e32 v4, v27
	v_pk_fma_f32 v[30:31], v[14:15], v[8:9], v[2:3] op_sel:[0,0,1] op_sel_hi:[1,1,0] neg_lo:[0,0,1] neg_hi:[0,0,1]
	v_pk_fma_f32 v[94:95], v[14:15], v[8:9], v[2:3] op_sel:[0,0,1] op_sel_hi:[1,0,0]
	s_waitcnt lgkmcnt(1)
	v_pk_mul_f32 v[2:3], v[16:17], v[6:7] op_sel:[0,1]
	v_pk_mul_f32 v[0:1], v[18:19], v[10:11] op_sel:[0,1]
	v_pk_fma_f32 v[12:13], v[16:17], v[6:7], v[2:3] op_sel:[0,0,1] op_sel_hi:[1,1,0] neg_lo:[0,0,1] neg_hi:[0,0,1]
	v_pk_fma_f32 v[28:29], v[16:17], v[6:7], v[2:3] op_sel:[0,0,1] op_sel_hi:[1,0,0]
	v_pk_fma_f32 v[6:7], v[18:19], v[10:11], v[0:1] op_sel:[0,0,1] op_sel_hi:[1,1,0] neg_lo:[0,0,1] neg_hi:[0,0,1]
	v_pk_fma_f32 v[18:19], v[18:19], v[10:11], v[0:1] op_sel:[0,0,1] op_sel_hi:[1,0,0]
	s_waitcnt lgkmcnt(0)
	v_pk_mul_f32 v[0:1], v[22:23], v[72:73] op_sel:[0,1]
	v_pk_mul_f32 v[8:9], v[20:21], v[4:5] op_sel_hi:[1,0]
	v_pk_fma_f32 v[96:97], v[22:23], v[72:73], v[0:1] op_sel:[0,0,1] op_sel_hi:[1,1,0] neg_lo:[0,0,1] neg_hi:[0,0,1]
	v_pk_fma_f32 v[98:99], v[22:23], v[72:73], v[0:1] op_sel:[0,0,1] op_sel_hi:[1,0,0]
	ds_read2_b64 v[0:3], v63 offset0:112 offset1:232
	ds_read2_b64 v[72:75], v82 offset0:80 offset1:200
	v_pk_fma_f32 v[10:11], v[20:21], v[26:27], v[8:9] op_sel:[0,0,1] op_sel_hi:[1,1,0] neg_lo:[0,0,1] neg_hi:[0,0,1]
	v_pk_fma_f32 v[22:23], v[20:21], v[26:27], v[8:9] op_sel:[0,0,1] op_sel_hi:[1,0,0]
	s_waitcnt vmcnt(7)
	v_mov_b32_e32 v4, v39
	s_waitcnt lgkmcnt(1)
	v_pk_mul_f32 v[14:15], v[2:3], v[24:25] op_sel:[0,1]
	v_mov_b32_e32 v97, v99
	v_pk_fma_f32 v[8:9], v[2:3], v[24:25], v[14:15] op_sel:[0,0,1] op_sel_hi:[1,1,0] neg_lo:[0,0,1] neg_hi:[0,0,1]
	v_pk_fma_f32 v[26:27], v[2:3], v[24:25], v[14:15] op_sel:[0,0,1] op_sel_hi:[1,0,0]
	v_pk_mul_f32 v[2:3], v[0:1], v[32:33] op_sel:[0,1]
	s_waitcnt lgkmcnt(0)
	v_pk_mul_f32 v[14:15], v[72:73], v[4:5] op_sel_hi:[1,0]
	v_pk_fma_f32 v[16:17], v[0:1], v[32:33], v[2:3] op_sel:[0,0,1] op_sel_hi:[1,1,0] neg_lo:[0,0,1] neg_hi:[0,0,1]
	v_pk_fma_f32 v[32:33], v[0:1], v[32:33], v[2:3] op_sel:[0,0,1] op_sel_hi:[1,0,0]
	v_mov_b32_e32 v0, v35
	v_pk_mul_f32 v[0:1], v[74:75], v[0:1] op_sel_hi:[1,0]
	s_waitcnt vmcnt(5)
	v_mov_b32_e32 v4, v47
	v_pk_fma_f32 v[24:25], v[74:75], v[34:35], v[0:1] op_sel:[0,0,1] op_sel_hi:[1,1,0] neg_lo:[0,0,1] neg_hi:[0,0,1]
	v_pk_fma_f32 v[34:35], v[74:75], v[34:35], v[0:1] op_sel:[0,0,1] op_sel_hi:[1,0,0]
	ds_read2_b64 v[0:3], v85 offset0:128 offset1:248
	v_pk_fma_f32 v[74:75], v[72:73], v[38:39], v[14:15] op_sel:[0,0,1] op_sel_hi:[1,1,0] neg_lo:[0,0,1] neg_hi:[0,0,1]
	v_pk_fma_f32 v[72:73], v[72:73], v[38:39], v[14:15] op_sel:[0,0,1] op_sel_hi:[1,0,0]
	v_mov_b32_e32 v91, v93
	v_mov_b32_e32 v75, v73
	s_waitcnt lgkmcnt(0)
	v_pk_mul_f32 v[14:15], v[2:3], v[36:37] op_sel:[0,1]
	v_mov_b32_e32 v31, v95
	v_pk_fma_f32 v[100:101], v[2:3], v[36:37], v[14:15] op_sel:[0,0,1] op_sel_hi:[1,1,0] neg_lo:[0,0,1] neg_hi:[0,0,1]
	v_pk_fma_f32 v[102:103], v[2:3], v[36:37], v[14:15] op_sel:[0,0,1] op_sel_hi:[1,0,0]
	ds_read2_b64 v[36:39], v89 offset0:96 offset1:216
	v_pk_mul_f32 v[2:3], v[0:1], v[40:41] op_sel:[0,1]
	v_mov_b32_e32 v101, v103
	v_pk_fma_f32 v[104:105], v[0:1], v[40:41], v[2:3] op_sel:[0,0,1] op_sel_hi:[1,1,0] neg_lo:[0,0,1] neg_hi:[0,0,1]
	v_pk_fma_f32 v[106:107], v[0:1], v[40:41], v[2:3] op_sel:[0,0,1] op_sel_hi:[1,0,0]
	v_mov_b32_e32 v0, v43
	s_waitcnt lgkmcnt(0)
	v_pk_mul_f32 v[0:1], v[38:39], v[0:1] op_sel_hi:[1,0]
	v_pk_mul_f32 v[14:15], v[36:37], v[4:5] op_sel_hi:[1,0]
	v_pk_fma_f32 v[108:109], v[38:39], v[42:43], v[0:1] op_sel:[0,0,1] op_sel_hi:[1,1,0] neg_lo:[0,0,1] neg_hi:[0,0,1]
	v_pk_fma_f32 v[42:43], v[38:39], v[42:43], v[0:1] op_sel:[0,0,1] op_sel_hi:[1,0,0]
	ds_read2_b64 v[0:3], v84 offset0:16 offset1:136
	ds_read2_b64 v[38:41], v83 offset0:64 offset1:184
	v_pk_fma_f32 v[110:111], v[36:37], v[46:47], v[14:15] op_sel:[0,0,1] op_sel_hi:[1,1,0] neg_lo:[0,0,1] neg_hi:[0,0,1]
	v_pk_fma_f32 v[46:47], v[36:37], v[46:47], v[14:15] op_sel:[0,0,1] op_sel_hi:[1,0,0]
	s_waitcnt vmcnt(3)
	v_mov_b32_e32 v4, v55
	s_waitcnt lgkmcnt(1)
	v_pk_mul_f32 v[14:15], v[44:45], v[2:3] op_sel:[0,1]
	v_mov_b32_e32 v109, v43
	v_pk_fma_f32 v[112:113], v[44:45], v[2:3], v[14:15] op_sel:[0,0,1] op_sel_hi:[1,1,0] neg_lo:[0,0,1] neg_hi:[0,0,1]
	v_pk_fma_f32 v[44:45], v[44:45], v[2:3], v[14:15] op_sel:[0,0,1] op_sel_hi:[1,0,0]
	v_mov_b32_e32 v2, v51
	v_pk_mul_f32 v[2:3], v[0:1], v[2:3] op_sel_hi:[1,0]
	v_mov_b32_e32 v113, v45
	v_pk_fma_f32 v[20:21], v[0:1], v[50:51], v[2:3] op_sel:[0,0,1] op_sel_hi:[1,1,0] neg_lo:[0,0,1] neg_hi:[0,0,1]
	v_pk_fma_f32 v[50:51], v[0:1], v[50:51], v[2:3] op_sel:[0,0,1] op_sel_hi:[1,0,0]
	s_waitcnt lgkmcnt(0)
	v_pk_mul_f32 v[0:1], v[40:41], v[48:49] op_sel:[0,1]
	v_mov_b32_e32 v111, v47
	v_pk_fma_f32 v[14:15], v[40:41], v[48:49], v[0:1] op_sel:[0,0,1] op_sel_hi:[1,1,0] neg_lo:[0,0,1] neg_hi:[0,0,1]
	v_pk_fma_f32 v[48:49], v[40:41], v[48:49], v[0:1] op_sel:[0,0,1] op_sel_hi:[1,0,0]
	ds_read2_b64 v[0:3], v78 offset0:32 offset1:152
	v_pk_mul_f32 v[40:41], v[38:39], v[52:53] op_sel:[0,1]
	v_mov_b32_e32 v105, v107
	v_pk_fma_f32 v[36:37], v[38:39], v[52:53], v[40:41] op_sel:[0,0,1] op_sel_hi:[1,1,0] neg_lo:[0,0,1] neg_hi:[0,0,1]
	v_pk_fma_f32 v[52:53], v[38:39], v[52:53], v[40:41] op_sel:[0,0,1] op_sel_hi:[1,0,0]
	s_waitcnt lgkmcnt(0)
	v_pk_mul_f32 v[38:39], v[2:3], v[4:5] op_sel_hi:[1,0]
	s_waitcnt vmcnt(1)
	v_mov_b32_e32 v4, v67
	v_pk_fma_f32 v[114:115], v[2:3], v[54:55], v[38:39] op_sel:[0,0,1] op_sel_hi:[1,1,0] neg_lo:[0,0,1] neg_hi:[0,0,1]
	v_pk_fma_f32 v[54:55], v[2:3], v[54:55], v[38:39] op_sel:[0,0,1] op_sel_hi:[1,0,0]
	ds_read2_b64 v[38:41], v79 offset0:80 offset1:200
	v_mov_b32_e32 v2, v59
	v_pk_mul_f32 v[2:3], v[0:1], v[2:3] op_sel_hi:[1,0]
	v_mov_b32_e32 v37, v53
	v_pk_fma_f32 v[116:117], v[0:1], v[58:59], v[2:3] op_sel:[0,0,1] op_sel_hi:[1,1,0] neg_lo:[0,0,1] neg_hi:[0,0,1]
	v_pk_fma_f32 v[58:59], v[0:1], v[58:59], v[2:3] op_sel:[0,0,1] op_sel_hi:[1,0,0]
	s_waitcnt lgkmcnt(0)
	v_pk_mul_f32 v[0:1], v[40:41], v[56:57] op_sel:[0,1]
	v_mov_b32_e32 v117, v59
	v_pk_fma_f32 v[118:119], v[40:41], v[56:57], v[0:1] op_sel:[0,0,1] op_sel_hi:[1,1,0] neg_lo:[0,0,1] neg_hi:[0,0,1]
	v_pk_fma_f32 v[56:57], v[40:41], v[56:57], v[0:1] op_sel:[0,0,1] op_sel_hi:[1,0,0]
	ds_read2_b64 v[0:3], v87 offset0:48 offset1:168
	v_pk_mul_f32 v[40:41], v[38:39], v[64:65] op_sel:[0,1]
	v_mov_b32_e32 v119, v57
	v_pk_fma_f32 v[120:121], v[38:39], v[64:65], v[40:41] op_sel:[0,0,1] op_sel_hi:[1,1,0] neg_lo:[0,0,1] neg_hi:[0,0,1]
	v_pk_fma_f32 v[38:39], v[38:39], v[64:65], v[40:41] op_sel:[0,0,1] op_sel_hi:[1,0,0]
	s_waitcnt lgkmcnt(0)
	v_pk_mul_f32 v[40:41], v[2:3], v[4:5] op_sel_hi:[1,0]
	v_mov_b32_e32 v121, v39
	v_pk_fma_f32 v[64:65], v[2:3], v[66:67], v[40:41] op_sel:[0,0,1] op_sel_hi:[1,1,0] neg_lo:[0,0,1] neg_hi:[0,0,1]
	v_pk_fma_f32 v[66:67], v[2:3], v[66:67], v[40:41] op_sel:[0,0,1] op_sel_hi:[1,0,0]
	s_waitcnt vmcnt(0)
	v_pk_mul_f32 v[2:3], v[70:71], v[0:1] op_sel:[0,1]
	v_mov_b32_e32 v65, v67
	v_pk_fma_f32 v[122:123], v[70:71], v[0:1], v[2:3] op_sel:[0,0,1] op_sel_hi:[1,1,0] neg_lo:[0,0,1] neg_hi:[0,0,1]
	v_pk_fma_f32 v[40:41], v[70:71], v[0:1], v[2:3] op_sel:[0,0,1] op_sel_hi:[1,0,0]
	ds_read2_b64 v[0:3], v81 offset0:96 offset1:216
	v_mov_b32_e32 v123, v41
	ds_read2_b64 v[38:41], v76 offset1:120
	v_pk_add_f32 v[56:57], v[116:117], v[74:75]
	v_pk_add_f32 v[58:59], v[116:117], v[74:75] neg_lo:[0,1] neg_hi:[0,1]
	s_waitcnt lgkmcnt(1)
	v_pk_mul_f32 v[70:71], v[68:69], v[2:3] op_sel:[0,1]
	v_pk_mul_f32 v[58:59], v[58:59], s[2:3] op_sel_hi:[1,0]
	v_pk_fma_f32 v[124:125], v[68:69], v[2:3], v[70:71] op_sel:[0,0,1] op_sel_hi:[1,1,0] neg_lo:[0,0,1] neg_hi:[0,0,1]
	v_pk_fma_f32 v[2:3], v[68:69], v[2:3], v[70:71] op_sel:[0,0,1] op_sel_hi:[1,0,0]
	v_mov_b32_e32 v115, v55
	v_mov_b32_e32 v125, v3
	v_pk_add_f32 v[42:43], v[124:125], v[112:113]
	s_waitcnt lgkmcnt(0)
	v_pk_add_f32 v[2:3], v[38:39], v[122:123]
	v_pk_add_f32 v[46:47], v[42:43], v[96:97]
	;; [unrolled: 1-line block ×8, first 2 shown]
	ds_read2_b64 v[42:45], v88 offset0:112 offset1:232
	v_pk_add_f32 v[92:93], v[66:67], v[68:69]
	s_waitcnt lgkmcnt(0)
	s_barrier
	ds_write2_b64 v76, v[70:71], v[92:93] offset1:120
	v_pk_add_f32 v[70:71], v[122:123], v[110:111]
	v_pk_fma_f32 v[56:57], v[56:57], 0.5, v[42:43] op_sel_hi:[1,0,1] neg_lo:[1,0,0] neg_hi:[1,0,0]
	v_pk_fma_f32 v[38:39], v[70:71], 0.5, v[38:39] op_sel_hi:[1,0,1] neg_lo:[1,0,0] neg_hi:[1,0,0]
	v_pk_add_f32 v[70:71], v[64:65], v[108:109]
	v_pk_add_f32 v[64:65], v[64:65], v[108:109] neg_lo:[0,1] neg_hi:[0,1]
	v_pk_fma_f32 v[40:41], v[70:71], 0.5, v[40:41] op_sel_hi:[1,0,1] neg_lo:[1,0,0] neg_hi:[1,0,0]
	v_pk_add_f32 v[70:71], v[122:123], v[110:111] neg_lo:[0,1] neg_hi:[0,1]
	v_pk_mul_f32 v[64:65], v[64:65], s[2:3] op_sel_hi:[1,0]
	v_pk_mul_f32 v[70:71], v[70:71], s[2:3] op_sel_hi:[1,0]
	v_mov_b32_e32 v17, v33
	v_pk_add_f32 v[92:93], v[70:71], v[38:39] op_sel:[1,0] op_sel_hi:[0,1]
	v_pk_add_f32 v[38:39], v[38:39], v[70:71] op_sel:[0,1] op_sel_hi:[1,0] neg_lo:[0,1] neg_hi:[0,1]
	v_pk_add_f32 v[70:71], v[112:113], v[96:97]
	v_pk_add_f32 v[96:97], v[112:113], v[96:97] neg_lo:[0,1] neg_hi:[0,1]
	v_pk_fma_f32 v[70:71], v[70:71], 0.5, v[124:125] op_sel_hi:[1,0,1] neg_lo:[1,0,0] neg_hi:[1,0,0]
	v_mov_b32_e32 v25, v35
	v_pk_fma_f32 v[98:99], v[96:97], s[2:3], v[70:71] op_sel:[0,0,1] op_sel_hi:[1,0,0]
	v_pk_fma_f32 v[70:71], v[96:97], s[2:3], v[70:71] op_sel:[0,0,1] op_sel_hi:[1,0,0] neg_lo:[1,0,0] neg_hi:[1,0,0]
	v_mov_b32_e32 v96, v98
	v_mov_b32_e32 v97, v71
	v_pk_mul_f32 v[106:107], v[96:97], 0.5 op_sel_hi:[1,0]
	v_mul_f32_e32 v4, 0x3f5db3d7, v70
	v_pk_fma_f32 v[96:97], v[96:97], s[2:3], v[106:107] op_sel:[0,0,1] op_sel_hi:[1,1,0] neg_lo:[0,0,1] neg_hi:[0,0,1]
	v_pk_add_f32 v[106:107], v[64:65], v[40:41] op_sel:[1,0] op_sel_hi:[0,1]
	v_pk_add_f32 v[40:41], v[40:41], v[64:65] op_sel:[0,1] op_sel_hi:[1,0] neg_lo:[0,1] neg_hi:[0,1]
	v_pk_add_f32 v[64:65], v[104:105], v[90:91]
	v_pk_add_f32 v[90:91], v[104:105], v[90:91] neg_lo:[0,1] neg_hi:[0,1]
	v_pk_fma_f32 v[64:65], v[64:65], 0.5, v[120:121] op_sel_hi:[1,0,1] neg_lo:[1,0,0] neg_hi:[1,0,0]
	v_mul_f32_e32 v7, 0xbf5db3d7, v99
	v_pk_fma_f32 v[104:105], v[90:91], s[2:3], v[64:65] op_sel:[0,0,1] op_sel_hi:[1,0,0]
	v_pk_fma_f32 v[64:65], v[90:91], s[2:3], v[64:65] op_sel:[0,0,1] op_sel_hi:[1,0,0] neg_lo:[1,0,0] neg_hi:[1,0,0]
	v_mul_f32_e32 v11, 0xbf5db3d7, v105
	v_mul_f32_e32 v9, 0x3f5db3d7, v64
	v_fmac_f32_e32 v4, 0.5, v99
	v_fmac_f32_e32 v7, 0.5, v70
	;; [unrolled: 1-line block ×4, first 2 shown]
	v_mov_b32_e32 v91, v65
	v_sub_f32_e32 v64, v92, v4
	v_sub_f32_e32 v65, v39, v7
	v_sub_f32_e32 v70, v106, v9
	v_sub_f32_e32 v71, v41, v11
	ds_write2_b64 v89, v[64:65], v[70:71] offset0:96 offset1:216
	v_pk_add_f32 v[64:65], v[58:59], v[56:57] op_sel:[1,0] op_sel_hi:[0,1]
	v_pk_add_f32 v[56:57], v[56:57], v[58:59] op_sel:[0,1] op_sel_hi:[1,0] neg_lo:[0,1] neg_hi:[0,1]
	v_pk_add_f32 v[58:59], v[100:101], v[30:31]
	v_pk_add_f32 v[70:71], v[100:101], v[30:31] neg_lo:[0,1] neg_hi:[0,1]
	v_pk_fma_f32 v[58:59], v[58:59], 0.5, v[118:119] op_sel_hi:[1,0,1] neg_lo:[1,0,0] neg_hi:[1,0,0]
	v_mov_b32_e32 v110, v40
	v_pk_fma_f32 v[72:73], v[70:71], s[2:3], v[58:59] op_sel:[0,0,1] op_sel_hi:[1,0,0]
	v_pk_fma_f32 v[58:59], v[70:71], s[2:3], v[58:59] op_sel:[0,0,1] op_sel_hi:[1,0,0] neg_lo:[1,0,0] neg_hi:[1,0,0]
	v_add_f32_e32 v40, v106, v9
	v_add_f32_e32 v41, v41, v11
	v_mul_f32_e32 v9, 0x3f5db3d7, v58
	v_mul_f32_e32 v11, 0xbf5db3d7, v73
	v_fmac_f32_e32 v9, 0.5, v73
	v_fmac_f32_e32 v11, 0.5, v58
	v_add_f32_e32 v70, v64, v9
	v_add_f32_e32 v71, v57, v11
	ds_write2_b64 v79, v[40:41], v[70:71] offset0:80 offset1:200
	v_pk_add_f32 v[40:41], v[42:43], v[116:117]
	v_pk_add_f32 v[42:43], v[118:119], v[100:101]
	v_mov_b32_e32 v13, v29
	v_pk_add_f32 v[28:29], v[44:45], v[114:115]
	v_pk_add_f32 v[32:33], v[36:37], v[16:17]
	;; [unrolled: 1-line block ×6, first 2 shown]
	v_pk_add_f32 v[42:43], v[66:67], v[68:69] neg_lo:[0,1] neg_hi:[0,1]
	v_pk_add_f32 v[66:67], v[40:41], v[30:31] neg_lo:[0,1] neg_hi:[0,1]
	v_pk_add_f32 v[30:31], v[40:41], v[30:31]
	v_pk_add_f32 v[34:35], v[28:29], v[32:33]
	ds_write2_b64 v88, v[30:31], v[34:35] offset0:112 offset1:232
	v_pk_add_f32 v[30:31], v[114:115], v[24:25]
	v_pk_add_f32 v[2:3], v[2:3], v[46:47] neg_lo:[0,1] neg_hi:[0,1]
	v_pk_add_f32 v[24:25], v[114:115], v[24:25] neg_lo:[0,1] neg_hi:[0,1]
	v_pk_add_f32 v[46:47], v[16:17], v[12:13]
	v_pk_fma_f32 v[30:31], v[30:31], 0.5, v[44:45] op_sel_hi:[1,0,1] neg_lo:[1,0,0] neg_hi:[1,0,0]
	v_pk_mul_f32 v[24:25], v[24:25], s[2:3] op_sel_hi:[1,0]
	v_pk_fma_f32 v[36:37], v[46:47], 0.5, v[36:37] op_sel_hi:[1,0,1] neg_lo:[1,0,0] neg_hi:[1,0,0]
	v_pk_add_f32 v[12:13], v[16:17], v[12:13] neg_lo:[0,1] neg_hi:[0,1]
	v_pk_add_f32 v[44:45], v[24:25], v[30:31] op_sel:[1,0] op_sel_hi:[0,1]
	v_pk_fma_f32 v[16:17], v[12:13], s[2:3], v[36:37] op_sel:[0,0,1] op_sel_hi:[1,0,0]
	v_pk_fma_f32 v[12:13], v[12:13], s[2:3], v[36:37] op_sel:[0,0,1] op_sel_hi:[1,0,0] neg_lo:[1,0,0] neg_hi:[1,0,0]
	v_mov_b32_e32 v90, v104
	v_add_f32_e32 v34, v92, v4
	v_pk_add_f32 v[24:25], v[30:31], v[24:25] op_sel:[0,1] op_sel_hi:[1,0] neg_lo:[0,1] neg_hi:[0,1]
	v_mov_b32_e32 v31, v45
	v_mul_f32_e32 v4, 0x3f5db3d7, v12
	v_mul_f32_e32 v45, 0xbf5db3d7, v17
	v_pk_mul_f32 v[108:109], v[90:91], 0.5 op_sel_hi:[1,0]
	v_fmac_f32_e32 v4, 0.5, v17
	v_fmac_f32_e32 v45, 0.5, v12
	v_pk_fma_f32 v[90:91], v[90:91], s[2:3], v[108:109] op_sel:[0,0,1] op_sel_hi:[1,1,0] neg_lo:[0,0,1] neg_hi:[0,0,1]
	v_mov_b32_e32 v108, v38
	v_add_f32_e32 v35, v39, v7
	v_sub_f32_e32 v38, v64, v9
	v_sub_f32_e32 v39, v57, v11
	v_mov_b32_e32 v21, v51
	v_mov_b32_e32 v11, v23
	;; [unrolled: 1-line block ×3, first 2 shown]
	v_add_f32_e32 v17, v25, v45
	v_sub_f32_e32 v24, v44, v4
	v_sub_f32_e32 v25, v25, v45
	v_mov_b32_e32 v15, v49
	v_mov_b32_e32 v9, v27
	;; [unrolled: 1-line block ×3, first 2 shown]
	v_pk_add_f32 v[18:19], v[0:1], v[20:21]
	ds_write2_b64 v82, v[38:39], v[24:25] offset0:80 offset1:200
	v_pk_add_f32 v[24:25], v[20:21], v[10:11]
	v_pk_add_f32 v[18:19], v[18:19], v[10:11]
	;; [unrolled: 1-line block ×3, first 2 shown]
	v_pk_fma_f32 v[0:1], v[24:25], 0.5, v[0:1] op_sel_hi:[1,0,1] neg_lo:[1,0,0] neg_hi:[1,0,0]
	v_pk_add_f32 v[10:11], v[20:21], v[10:11] neg_lo:[0,1] neg_hi:[0,1]
	v_pk_add_f32 v[24:25], v[8:9], v[6:7]
	v_mov_b32_e32 v58, v72
	v_pk_add_f32 v[22:23], v[22:23], v[6:7]
	v_pk_mul_f32 v[10:11], v[10:11], s[2:3] op_sel_hi:[1,0]
	v_pk_fma_f32 v[14:15], v[24:25], 0.5, v[14:15] op_sel_hi:[1,0,1] neg_lo:[1,0,0] neg_hi:[1,0,0]
	v_pk_add_f32 v[6:7], v[8:9], v[6:7] neg_lo:[0,1] neg_hi:[0,1]
	ds_write2_b64 v85, v[42:43], v[66:67] offset0:128 offset1:248
	v_pk_mul_f32 v[66:67], v[58:59], 0.5 op_sel_hi:[1,0]
	v_mov_b32_e32 v36, v16
	v_mov_b32_e32 v37, v13
	v_pk_add_f32 v[20:21], v[10:11], v[0:1] op_sel:[1,0] op_sel_hi:[0,1]
	v_pk_add_f32 v[0:1], v[0:1], v[10:11] op_sel:[0,1] op_sel_hi:[1,0] neg_lo:[0,1] neg_hi:[0,1]
	v_pk_fma_f32 v[8:9], v[6:7], s[2:3], v[14:15] op_sel:[0,0,1] op_sel_hi:[1,0,0]
	v_pk_fma_f32 v[6:7], v[6:7], s[2:3], v[14:15] op_sel:[0,0,1] op_sel_hi:[1,0,0] neg_lo:[1,0,0] neg_hi:[1,0,0]
	v_mov_b32_e32 v111, v107
	v_pk_fma_f32 v[58:59], v[58:59], s[2:3], v[66:67] op_sel:[0,0,1] op_sel_hi:[1,1,0] neg_lo:[0,0,1] neg_hi:[0,0,1]
	v_mov_b32_e32 v66, v56
	v_mov_b32_e32 v67, v65
	v_add_f32_e32 v16, v44, v4
	v_pk_mul_f32 v[12:13], v[36:37], 0.5 op_sel_hi:[1,0]
	v_mov_b32_e32 v10, v0
	v_mov_b32_e32 v14, v8
	;; [unrolled: 1-line block ×3, first 2 shown]
	v_mul_f32_e32 v0, 0x3f5db3d7, v6
	v_mul_f32_e32 v4, 0xbf5db3d7, v9
	v_mov_b32_e32 v109, v93
	v_pk_add_f32 v[42:43], v[110:111], v[90:91] neg_lo:[0,1] neg_hi:[0,1]
	v_pk_add_f32 v[68:69], v[66:67], v[58:59] neg_lo:[0,1] neg_hi:[0,1]
	v_pk_fma_f32 v[12:13], v[36:37], s[2:3], v[12:13] op_sel:[0,0,1] op_sel_hi:[1,1,0] neg_lo:[0,0,1] neg_hi:[0,0,1]
	v_fmac_f32_e32 v0, 0.5, v9
	v_fmac_f32_e32 v4, 0.5, v6
	v_pk_mul_f32 v[6:7], v[14:15], 0.5 op_sel_hi:[1,0]
	v_pk_add_f32 v[112:113], v[108:109], v[96:97]
	v_pk_add_f32 v[120:121], v[110:111], v[90:91]
	ds_write2_b64 v86, v[42:43], v[68:69] offset0:48 offset1:168
	v_pk_add_f32 v[40:41], v[18:19], v[22:23]
	v_pk_add_f32 v[42:43], v[66:67], v[58:59]
	;; [unrolled: 1-line block ×3, first 2 shown]
	v_mov_b32_e32 v11, v21
	v_add_f32_e32 v8, v20, v0
	v_add_f32_e32 v9, v1, v4
	v_pk_fma_f32 v[6:7], v[14:15], s[2:3], v[6:7] op_sel:[0,0,1] op_sel_hi:[1,1,0] neg_lo:[0,0,1] neg_hi:[0,0,1]
	ds_write2_b64 v87, v[112:113], v[120:121] offset0:48 offset1:168
	ds_write2_b64 v78, v[42:43], v[36:37] offset0:32 offset1:152
	v_pk_add_f32 v[28:29], v[28:29], v[32:33] neg_lo:[0,1] neg_hi:[0,1]
	ds_write2_b64 v81, v[40:41], v[34:35] offset0:96 offset1:216
	v_pk_add_f32 v[14:15], v[10:11], v[6:7]
	v_sub_f32_e32 v0, v20, v0
	v_sub_f32_e32 v1, v1, v4
	ds_write2_b64 v83, v[16:17], v[8:9] offset0:64 offset1:184
	ds_write2_b64 v84, v[14:15], v[2:3] offset0:16 offset1:136
	v_pk_add_f32 v[2:3], v[18:19], v[22:23] neg_lo:[0,1] neg_hi:[0,1]
	v_pk_add_f32 v[26:27], v[108:109], v[96:97] neg_lo:[0,1] neg_hi:[0,1]
	;; [unrolled: 1-line block ×3, first 2 shown]
	ds_write2_b64 v63, v[28:29], v[2:3] offset0:112 offset1:232
	ds_write2_b64 v77, v[0:1], v[26:27] offset0:64 offset1:184
	v_pk_add_f32 v[0:1], v[10:11], v[6:7] neg_lo:[0,1] neg_hi:[0,1]
	ds_write2_b64 v80, v[12:13], v[0:1] offset0:32 offset1:152
	s_waitcnt lgkmcnt(0)
	s_barrier
	s_and_saveexec_b64 s[2:3], s[0:1]
	s_cbranch_execz .LBB0_19
; %bb.18:
	v_lshl_add_u32 v10, v62, 3, 0
	ds_read2_b64 v[0:3], v10 offset1:120
	v_mov_b32_e32 v63, v5
	v_lshl_add_u64 v[6:7], v[62:63], 3, v[60:61]
	v_add_u32_e32 v8, 0x400, v10
	v_add_u32_e32 v4, 0x78, v62
	s_waitcnt lgkmcnt(0)
	global_store_dwordx2 v[6:7], v[0:1], off
	ds_read2_b64 v[6:9], v8 offset0:112 offset1:232
	v_lshl_add_u64 v[0:1], v[4:5], 3, v[60:61]
	v_add_u32_e32 v4, 0xf0, v62
	global_store_dwordx2 v[0:1], v[2:3], off
	v_lshl_add_u64 v[0:1], v[4:5], 3, v[60:61]
	s_waitcnt lgkmcnt(0)
	global_store_dwordx2 v[0:1], v[6:7], off
	v_add_u32_e32 v0, 0xc00, v10
	ds_read2_b64 v[0:3], v0 offset0:96 offset1:216
	v_add_u32_e32 v4, 0x168, v62
	v_lshl_add_u64 v[6:7], v[4:5], 3, v[60:61]
	v_add_u32_e32 v4, 0x1e0, v62
	global_store_dwordx2 v[6:7], v[8:9], off
	v_lshl_add_u64 v[6:7], v[4:5], 3, v[60:61]
	s_waitcnt lgkmcnt(0)
	global_store_dwordx2 v[6:7], v[0:1], off
	v_add_u32_e32 v0, 0x1400, v10
	ds_read2_b64 v[6:9], v0 offset0:80 offset1:200
	v_add_u32_e32 v4, 0x258, v62
	;; [unrolled: 9-line block ×13, first 2 shown]
	v_lshl_add_u64 v[6:7], v[4:5], 3, v[60:61]
	v_add_u32_e32 v4, 0xd20, v62
	global_store_dwordx2 v[6:7], v[8:9], off
	v_lshl_add_u64 v[6:7], v[4:5], 3, v[60:61]
	v_add_u32_e32 v4, 0xd98, v62
	s_waitcnt lgkmcnt(0)
	global_store_dwordx2 v[6:7], v[0:1], off
	v_lshl_add_u64 v[0:1], v[4:5], 3, v[60:61]
	global_store_dwordx2 v[0:1], v[2:3], off
.LBB0_19:
	s_endpgm
	.section	.rodata,"a",@progbits
	.p2align	6, 0x0
	.amdhsa_kernel fft_rtc_fwd_len3600_factors_10_10_6_6_wgs_120_tpt_120_halfLds_sp_ip_CI_unitstride_sbrr_C2R_dirReg
		.amdhsa_group_segment_fixed_size 0
		.amdhsa_private_segment_fixed_size 0
		.amdhsa_kernarg_size 88
		.amdhsa_user_sgpr_count 2
		.amdhsa_user_sgpr_dispatch_ptr 0
		.amdhsa_user_sgpr_queue_ptr 0
		.amdhsa_user_sgpr_kernarg_segment_ptr 1
		.amdhsa_user_sgpr_dispatch_id 0
		.amdhsa_user_sgpr_kernarg_preload_length 0
		.amdhsa_user_sgpr_kernarg_preload_offset 0
		.amdhsa_user_sgpr_private_segment_size 0
		.amdhsa_uses_dynamic_stack 0
		.amdhsa_enable_private_segment 0
		.amdhsa_system_sgpr_workgroup_id_x 1
		.amdhsa_system_sgpr_workgroup_id_y 0
		.amdhsa_system_sgpr_workgroup_id_z 0
		.amdhsa_system_sgpr_workgroup_info 0
		.amdhsa_system_vgpr_workitem_id 0
		.amdhsa_next_free_vgpr 152
		.amdhsa_next_free_sgpr 22
		.amdhsa_accum_offset 152
		.amdhsa_reserve_vcc 1
		.amdhsa_float_round_mode_32 0
		.amdhsa_float_round_mode_16_64 0
		.amdhsa_float_denorm_mode_32 3
		.amdhsa_float_denorm_mode_16_64 3
		.amdhsa_dx10_clamp 1
		.amdhsa_ieee_mode 1
		.amdhsa_fp16_overflow 0
		.amdhsa_tg_split 0
		.amdhsa_exception_fp_ieee_invalid_op 0
		.amdhsa_exception_fp_denorm_src 0
		.amdhsa_exception_fp_ieee_div_zero 0
		.amdhsa_exception_fp_ieee_overflow 0
		.amdhsa_exception_fp_ieee_underflow 0
		.amdhsa_exception_fp_ieee_inexact 0
		.amdhsa_exception_int_div_zero 0
	.end_amdhsa_kernel
	.text
.Lfunc_end0:
	.size	fft_rtc_fwd_len3600_factors_10_10_6_6_wgs_120_tpt_120_halfLds_sp_ip_CI_unitstride_sbrr_C2R_dirReg, .Lfunc_end0-fft_rtc_fwd_len3600_factors_10_10_6_6_wgs_120_tpt_120_halfLds_sp_ip_CI_unitstride_sbrr_C2R_dirReg
                                        ; -- End function
	.section	.AMDGPU.csdata,"",@progbits
; Kernel info:
; codeLenInByte = 17056
; NumSgprs: 28
; NumVgprs: 152
; NumAgprs: 0
; TotalNumVgprs: 152
; ScratchSize: 0
; MemoryBound: 0
; FloatMode: 240
; IeeeMode: 1
; LDSByteSize: 0 bytes/workgroup (compile time only)
; SGPRBlocks: 3
; VGPRBlocks: 18
; NumSGPRsForWavesPerEU: 28
; NumVGPRsForWavesPerEU: 152
; AccumOffset: 152
; Occupancy: 3
; WaveLimiterHint : 1
; COMPUTE_PGM_RSRC2:SCRATCH_EN: 0
; COMPUTE_PGM_RSRC2:USER_SGPR: 2
; COMPUTE_PGM_RSRC2:TRAP_HANDLER: 0
; COMPUTE_PGM_RSRC2:TGID_X_EN: 1
; COMPUTE_PGM_RSRC2:TGID_Y_EN: 0
; COMPUTE_PGM_RSRC2:TGID_Z_EN: 0
; COMPUTE_PGM_RSRC2:TIDIG_COMP_CNT: 0
; COMPUTE_PGM_RSRC3_GFX90A:ACCUM_OFFSET: 37
; COMPUTE_PGM_RSRC3_GFX90A:TG_SPLIT: 0
	.text
	.p2alignl 6, 3212836864
	.fill 256, 4, 3212836864
	.type	__hip_cuid_765b211a2036e1b9,@object ; @__hip_cuid_765b211a2036e1b9
	.section	.bss,"aw",@nobits
	.globl	__hip_cuid_765b211a2036e1b9
__hip_cuid_765b211a2036e1b9:
	.byte	0                               ; 0x0
	.size	__hip_cuid_765b211a2036e1b9, 1

	.ident	"AMD clang version 19.0.0git (https://github.com/RadeonOpenCompute/llvm-project roc-6.4.0 25133 c7fe45cf4b819c5991fe208aaa96edf142730f1d)"
	.section	".note.GNU-stack","",@progbits
	.addrsig
	.addrsig_sym __hip_cuid_765b211a2036e1b9
	.amdgpu_metadata
---
amdhsa.kernels:
  - .agpr_count:     0
    .args:
      - .actual_access:  read_only
        .address_space:  global
        .offset:         0
        .size:           8
        .value_kind:     global_buffer
      - .offset:         8
        .size:           8
        .value_kind:     by_value
      - .actual_access:  read_only
        .address_space:  global
        .offset:         16
        .size:           8
        .value_kind:     global_buffer
      - .actual_access:  read_only
        .address_space:  global
        .offset:         24
        .size:           8
        .value_kind:     global_buffer
      - .offset:         32
        .size:           8
        .value_kind:     by_value
      - .actual_access:  read_only
        .address_space:  global
        .offset:         40
        .size:           8
        .value_kind:     global_buffer
      - .actual_access:  read_only
        .address_space:  global
        .offset:         48
        .size:           8
        .value_kind:     global_buffer
      - .offset:         56
        .size:           4
        .value_kind:     by_value
      - .actual_access:  read_only
        .address_space:  global
        .offset:         64
        .size:           8
        .value_kind:     global_buffer
      - .actual_access:  read_only
        .address_space:  global
        .offset:         72
        .size:           8
        .value_kind:     global_buffer
      - .address_space:  global
        .offset:         80
        .size:           8
        .value_kind:     global_buffer
    .group_segment_fixed_size: 0
    .kernarg_segment_align: 8
    .kernarg_segment_size: 88
    .language:       OpenCL C
    .language_version:
      - 2
      - 0
    .max_flat_workgroup_size: 120
    .name:           fft_rtc_fwd_len3600_factors_10_10_6_6_wgs_120_tpt_120_halfLds_sp_ip_CI_unitstride_sbrr_C2R_dirReg
    .private_segment_fixed_size: 0
    .sgpr_count:     28
    .sgpr_spill_count: 0
    .symbol:         fft_rtc_fwd_len3600_factors_10_10_6_6_wgs_120_tpt_120_halfLds_sp_ip_CI_unitstride_sbrr_C2R_dirReg.kd
    .uniform_work_group_size: 1
    .uses_dynamic_stack: false
    .vgpr_count:     152
    .vgpr_spill_count: 0
    .wavefront_size: 64
amdhsa.target:   amdgcn-amd-amdhsa--gfx950
amdhsa.version:
  - 1
  - 2
...

	.end_amdgpu_metadata
